;; amdgpu-corpus repo=ROCm/rocFFT kind=compiled arch=gfx906 opt=O3
	.text
	.amdgcn_target "amdgcn-amd-amdhsa--gfx906"
	.amdhsa_code_object_version 6
	.protected	fft_rtc_fwd_len612_factors_17_3_6_2_wgs_51_tpt_51_halfLds_dp_ip_CI_unitstride_sbrr_R2C_dirReg ; -- Begin function fft_rtc_fwd_len612_factors_17_3_6_2_wgs_51_tpt_51_halfLds_dp_ip_CI_unitstride_sbrr_R2C_dirReg
	.globl	fft_rtc_fwd_len612_factors_17_3_6_2_wgs_51_tpt_51_halfLds_dp_ip_CI_unitstride_sbrr_R2C_dirReg
	.p2align	8
	.type	fft_rtc_fwd_len612_factors_17_3_6_2_wgs_51_tpt_51_halfLds_dp_ip_CI_unitstride_sbrr_R2C_dirReg,@function
fft_rtc_fwd_len612_factors_17_3_6_2_wgs_51_tpt_51_halfLds_dp_ip_CI_unitstride_sbrr_R2C_dirReg: ; @fft_rtc_fwd_len612_factors_17_3_6_2_wgs_51_tpt_51_halfLds_dp_ip_CI_unitstride_sbrr_R2C_dirReg
; %bb.0:
	s_load_dwordx2 s[2:3], s[4:5], 0x50
	s_load_dwordx4 s[8:11], s[4:5], 0x0
	s_load_dwordx2 s[12:13], s[4:5], 0x18
	v_mul_u32_u24_e32 v1, 0x506, v0
	v_add_u32_sdwa v5, s6, v1 dst_sel:DWORD dst_unused:UNUSED_PAD src0_sel:DWORD src1_sel:WORD_1
	v_mov_b32_e32 v3, 0
	s_waitcnt lgkmcnt(0)
	v_cmp_lt_u64_e64 s[0:1], s[10:11], 2
	v_mov_b32_e32 v1, 0
	v_mov_b32_e32 v6, v3
	s_and_b64 vcc, exec, s[0:1]
	v_mov_b32_e32 v2, 0
	s_cbranch_vccnz .LBB0_8
; %bb.1:
	s_load_dwordx2 s[0:1], s[4:5], 0x10
	s_add_u32 s6, s12, 8
	s_addc_u32 s7, s13, 0
	v_mov_b32_e32 v1, 0
	v_mov_b32_e32 v2, 0
	s_waitcnt lgkmcnt(0)
	s_add_u32 s14, s0, 8
	s_addc_u32 s15, s1, 0
	s_mov_b64 s[16:17], 1
.LBB0_2:                                ; =>This Inner Loop Header: Depth=1
	s_load_dwordx2 s[18:19], s[14:15], 0x0
                                        ; implicit-def: $vgpr7_vgpr8
	s_waitcnt lgkmcnt(0)
	v_or_b32_e32 v4, s19, v6
	v_cmp_ne_u64_e32 vcc, 0, v[3:4]
	s_and_saveexec_b64 s[0:1], vcc
	s_xor_b64 s[20:21], exec, s[0:1]
	s_cbranch_execz .LBB0_4
; %bb.3:                                ;   in Loop: Header=BB0_2 Depth=1
	v_cvt_f32_u32_e32 v4, s18
	v_cvt_f32_u32_e32 v7, s19
	s_sub_u32 s0, 0, s18
	s_subb_u32 s1, 0, s19
	v_mac_f32_e32 v4, 0x4f800000, v7
	v_rcp_f32_e32 v4, v4
	v_mul_f32_e32 v4, 0x5f7ffffc, v4
	v_mul_f32_e32 v7, 0x2f800000, v4
	v_trunc_f32_e32 v7, v7
	v_mac_f32_e32 v4, 0xcf800000, v7
	v_cvt_u32_f32_e32 v7, v7
	v_cvt_u32_f32_e32 v4, v4
	v_mul_lo_u32 v8, s0, v7
	v_mul_hi_u32 v9, s0, v4
	v_mul_lo_u32 v11, s1, v4
	v_mul_lo_u32 v10, s0, v4
	v_add_u32_e32 v8, v9, v8
	v_add_u32_e32 v8, v8, v11
	v_mul_hi_u32 v9, v4, v10
	v_mul_lo_u32 v11, v4, v8
	v_mul_hi_u32 v13, v4, v8
	v_mul_hi_u32 v12, v7, v10
	v_mul_lo_u32 v10, v7, v10
	v_mul_hi_u32 v14, v7, v8
	v_add_co_u32_e32 v9, vcc, v9, v11
	v_addc_co_u32_e32 v11, vcc, 0, v13, vcc
	v_mul_lo_u32 v8, v7, v8
	v_add_co_u32_e32 v9, vcc, v9, v10
	v_addc_co_u32_e32 v9, vcc, v11, v12, vcc
	v_addc_co_u32_e32 v10, vcc, 0, v14, vcc
	v_add_co_u32_e32 v8, vcc, v9, v8
	v_addc_co_u32_e32 v9, vcc, 0, v10, vcc
	v_add_co_u32_e32 v4, vcc, v4, v8
	v_addc_co_u32_e32 v7, vcc, v7, v9, vcc
	v_mul_lo_u32 v8, s0, v7
	v_mul_hi_u32 v9, s0, v4
	v_mul_lo_u32 v10, s1, v4
	v_mul_lo_u32 v11, s0, v4
	v_add_u32_e32 v8, v9, v8
	v_add_u32_e32 v8, v8, v10
	v_mul_lo_u32 v12, v4, v8
	v_mul_hi_u32 v13, v4, v11
	v_mul_hi_u32 v14, v4, v8
	;; [unrolled: 1-line block ×3, first 2 shown]
	v_mul_lo_u32 v11, v7, v11
	v_mul_hi_u32 v9, v7, v8
	v_add_co_u32_e32 v12, vcc, v13, v12
	v_addc_co_u32_e32 v13, vcc, 0, v14, vcc
	v_mul_lo_u32 v8, v7, v8
	v_add_co_u32_e32 v11, vcc, v12, v11
	v_addc_co_u32_e32 v10, vcc, v13, v10, vcc
	v_addc_co_u32_e32 v9, vcc, 0, v9, vcc
	v_add_co_u32_e32 v8, vcc, v10, v8
	v_addc_co_u32_e32 v9, vcc, 0, v9, vcc
	v_add_co_u32_e32 v4, vcc, v4, v8
	v_addc_co_u32_e32 v9, vcc, v7, v9, vcc
	v_mad_u64_u32 v[7:8], s[0:1], v5, v9, 0
	v_mul_hi_u32 v10, v5, v4
	v_add_co_u32_e32 v11, vcc, v10, v7
	v_addc_co_u32_e32 v12, vcc, 0, v8, vcc
	v_mad_u64_u32 v[7:8], s[0:1], v6, v4, 0
	v_mad_u64_u32 v[9:10], s[0:1], v6, v9, 0
	v_add_co_u32_e32 v4, vcc, v11, v7
	v_addc_co_u32_e32 v4, vcc, v12, v8, vcc
	v_addc_co_u32_e32 v7, vcc, 0, v10, vcc
	v_add_co_u32_e32 v4, vcc, v4, v9
	v_addc_co_u32_e32 v9, vcc, 0, v7, vcc
	v_mul_lo_u32 v10, s19, v4
	v_mul_lo_u32 v11, s18, v9
	v_mad_u64_u32 v[7:8], s[0:1], s18, v4, 0
	v_add3_u32 v8, v8, v11, v10
	v_sub_u32_e32 v10, v6, v8
	v_mov_b32_e32 v11, s19
	v_sub_co_u32_e32 v7, vcc, v5, v7
	v_subb_co_u32_e64 v10, s[0:1], v10, v11, vcc
	v_subrev_co_u32_e64 v11, s[0:1], s18, v7
	v_subbrev_co_u32_e64 v10, s[0:1], 0, v10, s[0:1]
	v_cmp_le_u32_e64 s[0:1], s19, v10
	v_cndmask_b32_e64 v12, 0, -1, s[0:1]
	v_cmp_le_u32_e64 s[0:1], s18, v11
	v_cndmask_b32_e64 v11, 0, -1, s[0:1]
	v_cmp_eq_u32_e64 s[0:1], s19, v10
	v_cndmask_b32_e64 v10, v12, v11, s[0:1]
	v_add_co_u32_e64 v11, s[0:1], 2, v4
	v_addc_co_u32_e64 v12, s[0:1], 0, v9, s[0:1]
	v_add_co_u32_e64 v13, s[0:1], 1, v4
	v_addc_co_u32_e64 v14, s[0:1], 0, v9, s[0:1]
	v_subb_co_u32_e32 v8, vcc, v6, v8, vcc
	v_cmp_ne_u32_e64 s[0:1], 0, v10
	v_cmp_le_u32_e32 vcc, s19, v8
	v_cndmask_b32_e64 v10, v14, v12, s[0:1]
	v_cndmask_b32_e64 v12, 0, -1, vcc
	v_cmp_le_u32_e32 vcc, s18, v7
	v_cndmask_b32_e64 v7, 0, -1, vcc
	v_cmp_eq_u32_e32 vcc, s19, v8
	v_cndmask_b32_e32 v7, v12, v7, vcc
	v_cmp_ne_u32_e32 vcc, 0, v7
	v_cndmask_b32_e64 v7, v13, v11, s[0:1]
	v_cndmask_b32_e32 v8, v9, v10, vcc
	v_cndmask_b32_e32 v7, v4, v7, vcc
.LBB0_4:                                ;   in Loop: Header=BB0_2 Depth=1
	s_andn2_saveexec_b64 s[0:1], s[20:21]
	s_cbranch_execz .LBB0_6
; %bb.5:                                ;   in Loop: Header=BB0_2 Depth=1
	v_cvt_f32_u32_e32 v4, s18
	s_sub_i32 s20, 0, s18
	v_rcp_iflag_f32_e32 v4, v4
	v_mul_f32_e32 v4, 0x4f7ffffe, v4
	v_cvt_u32_f32_e32 v4, v4
	v_mul_lo_u32 v7, s20, v4
	v_mul_hi_u32 v7, v4, v7
	v_add_u32_e32 v4, v4, v7
	v_mul_hi_u32 v4, v5, v4
	v_mul_lo_u32 v7, v4, s18
	v_add_u32_e32 v8, 1, v4
	v_sub_u32_e32 v7, v5, v7
	v_subrev_u32_e32 v9, s18, v7
	v_cmp_le_u32_e32 vcc, s18, v7
	v_cndmask_b32_e32 v7, v7, v9, vcc
	v_cndmask_b32_e32 v4, v4, v8, vcc
	v_add_u32_e32 v8, 1, v4
	v_cmp_le_u32_e32 vcc, s18, v7
	v_cndmask_b32_e32 v7, v4, v8, vcc
	v_mov_b32_e32 v8, v3
.LBB0_6:                                ;   in Loop: Header=BB0_2 Depth=1
	s_or_b64 exec, exec, s[0:1]
	v_mul_lo_u32 v4, v8, s18
	v_mul_lo_u32 v11, v7, s19
	v_mad_u64_u32 v[9:10], s[0:1], v7, s18, 0
	s_load_dwordx2 s[0:1], s[6:7], 0x0
	s_add_u32 s16, s16, 1
	v_add3_u32 v4, v10, v11, v4
	v_sub_co_u32_e32 v5, vcc, v5, v9
	v_subb_co_u32_e32 v4, vcc, v6, v4, vcc
	s_waitcnt lgkmcnt(0)
	v_mul_lo_u32 v4, s0, v4
	v_mul_lo_u32 v6, s1, v5
	v_mad_u64_u32 v[1:2], s[0:1], s0, v5, v[1:2]
	s_addc_u32 s17, s17, 0
	s_add_u32 s6, s6, 8
	v_add3_u32 v2, v6, v2, v4
	v_mov_b32_e32 v4, s10
	v_mov_b32_e32 v5, s11
	s_addc_u32 s7, s7, 0
	v_cmp_ge_u64_e32 vcc, s[16:17], v[4:5]
	s_add_u32 s14, s14, 8
	s_addc_u32 s15, s15, 0
	s_cbranch_vccnz .LBB0_9
; %bb.7:                                ;   in Loop: Header=BB0_2 Depth=1
	v_mov_b32_e32 v5, v7
	v_mov_b32_e32 v6, v8
	s_branch .LBB0_2
.LBB0_8:
	v_mov_b32_e32 v8, v6
	v_mov_b32_e32 v7, v5
.LBB0_9:
	s_lshl_b64 s[0:1], s[10:11], 3
	s_add_u32 s0, s12, s0
	s_addc_u32 s1, s13, s1
	s_load_dwordx2 s[6:7], s[0:1], 0x0
	s_load_dwordx2 s[10:11], s[4:5], 0x20
	s_waitcnt lgkmcnt(0)
	v_mad_u64_u32 v[1:2], s[0:1], s6, v7, v[1:2]
	s_mov_b32 s0, 0x5050506
	v_mul_lo_u32 v3, s6, v8
	v_mul_lo_u32 v4, s7, v7
	v_mul_hi_u32 v5, v0, s0
	v_cmp_gt_u64_e64 s[0:1], s[10:11], v[7:8]
	v_add3_u32 v2, v4, v2, v3
	v_mul_u32_u24_e32 v3, 51, v5
	v_sub_u32_e32 v68, v0, v3
	v_lshlrev_b64 v[70:71], 4, v[1:2]
	v_lshl_add_u32 v112, v68, 4, 0
	s_and_saveexec_b64 s[4:5], s[0:1]
	s_cbranch_execz .LBB0_11
; %bb.10:
	v_mov_b32_e32 v69, 0
	v_mov_b32_e32 v0, s3
	v_add_co_u32_e32 v2, vcc, s2, v70
	v_addc_co_u32_e32 v3, vcc, v0, v71, vcc
	v_lshlrev_b64 v[0:1], 4, v[68:69]
	s_movk_i32 s6, 0x1000
	v_add_co_u32_e32 v39, vcc, v2, v0
	v_addc_co_u32_e32 v40, vcc, v3, v1, vcc
	v_add_co_u32_e32 v48, vcc, s6, v39
	v_addc_co_u32_e32 v49, vcc, 0, v40, vcc
	v_add_co_u32_e32 v50, vcc, 0x2000, v39
	global_load_dwordx4 v[0:3], v[39:40], off
	global_load_dwordx4 v[4:7], v[39:40], off offset:816
	global_load_dwordx4 v[8:11], v[39:40], off offset:1632
	;; [unrolled: 1-line block ×8, first 2 shown]
	s_nop 0
	global_load_dwordx4 v[36:39], v[48:49], off offset:3248
	v_addc_co_u32_e32 v51, vcc, 0, v40, vcc
	global_load_dwordx4 v[40:43], v[48:49], off offset:4064
	global_load_dwordx4 v[44:47], v[50:51], off offset:784
	s_waitcnt vmcnt(11)
	ds_write_b128 v112, v[0:3]
	s_waitcnt vmcnt(10)
	ds_write_b128 v112, v[4:7] offset:816
	s_waitcnt vmcnt(9)
	ds_write_b128 v112, v[8:11] offset:1632
	;; [unrolled: 2-line block ×11, first 2 shown]
.LBB0_11:
	s_or_b64 exec, exec, s[4:5]
	s_waitcnt lgkmcnt(0)
	; wave barrier
	s_waitcnt lgkmcnt(0)
	ds_read_b128 v[0:3], v112
	ds_read_b128 v[40:43], v112 offset:576
	ds_read_b128 v[48:51], v112 offset:1152
	;; [unrolled: 1-line block ×16, first 2 shown]
	v_cmp_gt_u32_e32 vcc, 36, v68
	s_waitcnt lgkmcnt(0)
	; wave barrier
	s_waitcnt lgkmcnt(0)
	s_and_saveexec_b64 s[4:5], vcc
	s_cbranch_execz .LBB0_13
; %bb.12:
	v_add_f64 v[76:77], v[2:3], v[42:43]
	v_add_f64 v[78:79], v[0:1], v[40:41]
	;; [unrolled: 1-line block ×3, first 2 shown]
	v_add_f64 v[94:95], v[46:47], -v[30:31]
	v_add_f64 v[98:99], v[54:55], v[26:27]
	v_add_f64 v[100:101], v[54:55], -v[26:27]
	s_mov_b32 s6, 0x7faef3
	s_mov_b32 s7, 0xbfef7484
	v_add_f64 v[84:85], v[76:77], v[50:51]
	v_add_f64 v[88:89], v[78:79], v[48:49]
	v_add_f64 v[78:79], v[44:45], -v[28:29]
	v_add_f64 v[76:77], v[44:45], v[28:29]
	v_add_f64 v[80:81], v[38:39], v[34:35]
	v_add_f64 v[74:75], v[36:37], -v[32:33]
	v_add_f64 v[72:73], v[36:37], v[32:33]
	v_add_f64 v[82:83], v[38:39], -v[34:35]
	v_add_f64 v[92:93], v[84:85], v[58:59]
	v_add_f64 v[106:107], v[88:89], v[56:57]
	v_add_f64 v[86:87], v[52:53], -v[24:25]
	v_add_f64 v[84:85], v[52:53], v[24:25]
	v_add_f64 v[104:105], v[62:63], v[22:23]
	v_add_f64 v[102:103], v[62:63], -v[22:23]
	s_mov_b32 s12, 0xacd6c6b4
	s_mov_b32 s10, 0x370991
	v_add_f64 v[113:114], v[92:93], v[66:67]
	v_add_f64 v[115:116], v[106:107], v[64:65]
	s_mov_b32 s13, 0x3fc7851a
	s_mov_b32 s11, 0x3fedd6d0
	v_add_f64 v[90:91], v[60:61], -v[20:21]
	v_add_f64 v[88:89], v[60:61], v[20:21]
	v_add_f64 v[110:111], v[58:59], v[14:15]
	s_mov_b32 s14, 0x5d8e7cdc
	v_add_f64 v[113:114], v[113:114], v[62:63]
	v_add_f64 v[115:116], v[115:116], v[60:61]
	;; [unrolled: 1-line block ×3, first 2 shown]
	v_add_f64 v[60:61], v[58:59], -v[14:15]
	v_add_f64 v[58:59], v[48:49], -v[8:9]
	s_mov_b32 s16, 0x910ea3b9
	s_mov_b32 s15, 0xbfd71e95
	;; [unrolled: 1-line block ×3, first 2 shown]
	v_add_f64 v[113:114], v[113:114], v[54:55]
	v_add_f64 v[115:116], v[115:116], v[52:53]
	;; [unrolled: 1-line block ×3, first 2 shown]
	v_add_f64 v[52:53], v[40:41], -v[4:5]
	v_add_f64 v[108:109], v[66:67], v[18:19]
	v_add_f64 v[106:107], v[66:67], -v[18:19]
	v_add_f64 v[66:67], v[56:57], -v[12:13]
	;; [unrolled: 1-line block ×3, first 2 shown]
	v_add_f64 v[46:47], v[113:114], v[46:47]
	v_add_f64 v[44:45], v[115:116], v[44:45]
	v_mul_f64 v[113:114], v[54:55], s[6:7]
	s_mov_b32 s18, 0x4363dd80
	s_mov_b32 s26, 0x75d4884
	;; [unrolled: 1-line block ×5, first 2 shown]
	v_add_f64 v[38:39], v[46:47], v[38:39]
	v_add_f64 v[36:37], v[44:45], v[36:37]
	v_mul_f64 v[44:45], v[62:63], s[10:11]
	v_fma_f64 v[46:47], v[52:53], s[12:13], v[113:114]
	s_mov_b32 s24, s12
	v_add_f64 v[92:93], v[64:65], -v[16:17]
	v_add_f64 v[50:51], v[50:51], -v[10:11]
	v_add_f64 v[40:41], v[40:41], v[4:5]
	v_add_f64 v[34:35], v[38:39], v[34:35]
	;; [unrolled: 1-line block ×3, first 2 shown]
	v_mul_f64 v[36:37], v[110:111], s[16:17]
	v_fma_f64 v[38:39], v[58:59], s[14:15], v[44:45]
	v_add_f64 v[46:47], v[2:3], v[46:47]
	s_mov_b32 s44, 0x2a9d6da3
	s_mov_b32 s20, 0x6ed5f1bb
	;; [unrolled: 1-line block ×3, first 2 shown]
	v_add_f64 v[30:31], v[34:35], v[30:31]
	v_add_f64 v[28:29], v[32:33], v[28:29]
	v_mul_f64 v[32:33], v[108:109], s[26:27]
	v_fma_f64 v[34:35], v[66:67], s[18:19], v[36:37]
	s_mov_b32 s21, 0xbfe348c8
	s_mov_b32 s31, 0x3fd71e95
	;; [unrolled: 1-line block ×3, first 2 shown]
	v_add_f64 v[48:49], v[48:49], v[8:9]
	v_add_f64 v[26:27], v[30:31], v[26:27]
	;; [unrolled: 1-line block ×4, first 2 shown]
	v_mul_f64 v[38:39], v[42:43], s[24:25]
	v_mul_f64 v[30:31], v[104:105], s[20:21]
	v_fma_f64 v[46:47], v[92:93], s[44:45], v[32:33]
	s_mov_b32 s22, 0x6c9a05f6
	s_mov_b32 s23, 0x3fe9895b
	v_add_f64 v[22:23], v[26:27], v[22:23]
	v_add_f64 v[20:21], v[24:25], v[20:21]
	;; [unrolled: 1-line block ×3, first 2 shown]
	v_mul_f64 v[26:27], v[50:51], s[30:31]
	v_fma_f64 v[28:29], v[40:41], s[6:7], v[38:39]
	s_mov_b32 s39, 0xbfe0d888
	s_mov_b32 s38, s18
	v_add_f64 v[64:65], v[64:65], v[16:17]
	v_add_f64 v[56:57], v[56:57], v[12:13]
	v_fma_f64 v[34:35], v[90:91], s[22:23], v[30:31]
	v_add_f64 v[18:19], v[22:23], v[18:19]
	v_add_f64 v[16:17], v[20:21], v[16:17]
	;; [unrolled: 1-line block ×3, first 2 shown]
	v_fma_f64 v[22:23], v[48:49], s[10:11], v[26:27]
	v_add_f64 v[24:25], v[0:1], v[28:29]
	v_mul_f64 v[28:29], v[60:61], s[38:39]
	s_mov_b32 s28, 0x2b2883cd
	s_mov_b32 s29, 0x3fdc86fa
	;; [unrolled: 1-line block ×4, first 2 shown]
	v_add_f64 v[14:15], v[18:19], v[14:15]
	v_add_f64 v[12:13], v[16:17], v[12:13]
	v_add_f64 v[16:17], v[34:35], v[20:21]
	v_mul_f64 v[18:19], v[98:99], s[28:29]
	v_add_f64 v[20:21], v[22:23], v[24:25]
	v_fma_f64 v[22:23], v[56:57], s[16:17], v[28:29]
	v_mul_f64 v[24:25], v[106:107], s[42:43]
	s_mov_b32 s34, 0x7c9e640b
	s_mov_b32 s36, 0xc61f0d01
	;; [unrolled: 1-line block ×6, first 2 shown]
	v_fma_f64 v[34:35], v[86:87], s[34:35], v[18:19]
	v_mul_f64 v[46:47], v[96:97], s[36:37]
	v_add_f64 v[20:21], v[22:23], v[20:21]
	v_fma_f64 v[22:23], v[64:65], s[26:27], v[24:25]
	v_mul_f64 v[115:116], v[102:103], s[48:49]
	s_mov_b32 s40, 0x923c349f
	s_mov_b32 s41, 0x3feec746
	v_add_f64 v[10:11], v[14:15], v[10:11]
	v_add_f64 v[14:15], v[34:35], v[16:17]
	v_fma_f64 v[16:17], v[78:79], s[40:41], v[46:47]
	s_mov_b32 s51, 0x3feca52d
	v_add_f64 v[20:21], v[22:23], v[20:21]
	v_fma_f64 v[22:23], v[52:53], s[24:25], v[113:114]
	v_fma_f64 v[34:35], v[88:89], s[20:21], v[115:116]
	s_mov_b32 s50, s34
	v_mul_f64 v[113:114], v[100:101], s[50:51]
	v_add_f64 v[8:9], v[12:13], v[8:9]
	v_add_f64 v[6:7], v[10:11], v[6:7]
	v_fma_f64 v[10:11], v[58:59], s[30:31], v[44:45]
	v_add_f64 v[14:15], v[16:17], v[14:15]
	v_add_f64 v[12:13], v[2:3], v[22:23]
	;; [unrolled: 1-line block ×3, first 2 shown]
	v_fma_f64 v[20:21], v[40:41], s[6:7], -v[38:39]
	v_fma_f64 v[22:23], v[84:85], s[28:29], v[113:114]
	v_fma_f64 v[26:27], v[48:49], s[10:11], -v[26:27]
	s_mov_b32 s52, 0x3259b75e
	s_mov_b32 s53, 0x3fb79ee6
	;; [unrolled: 1-line block ×3, first 2 shown]
	v_add_f64 v[10:11], v[10:11], v[12:13]
	v_fma_f64 v[12:13], v[66:67], s[38:39], v[36:37]
	v_add_f64 v[20:21], v[0:1], v[20:21]
	v_add_f64 v[16:17], v[22:23], v[16:17]
	v_mul_f64 v[22:23], v[80:81], s[52:53]
	s_mov_b32 s47, 0xbfeec746
	s_mov_b32 s46, s40
	;; [unrolled: 1-line block ×3, first 2 shown]
	v_mul_f64 v[34:35], v[94:95], s[46:47]
	v_add_f64 v[10:11], v[12:13], v[10:11]
	v_fma_f64 v[12:13], v[92:93], s[42:43], v[32:33]
	v_add_f64 v[20:21], v[26:27], v[20:21]
	v_fma_f64 v[26:27], v[56:57], s[16:17], -v[28:29]
	v_fma_f64 v[28:29], v[74:75], s[56:57], v[22:23]
	v_mul_f64 v[32:33], v[54:55], s[16:17]
	v_add_f64 v[4:5], v[8:9], v[4:5]
	v_fma_f64 v[24:25], v[64:65], s[26:27], -v[24:25]
	v_fma_f64 v[36:37], v[76:77], s[36:37], v[34:35]
	v_add_f64 v[8:9], v[12:13], v[10:11]
	v_fma_f64 v[12:13], v[90:91], s[48:49], v[30:31]
	v_add_f64 v[20:21], v[26:27], v[20:21]
	v_add_f64 v[10:11], v[28:29], v[14:15]
	v_fma_f64 v[14:15], v[52:53], s[18:19], v[32:33]
	v_mul_f64 v[26:27], v[62:63], s[28:29]
	v_mul_f64 v[28:29], v[110:111], s[52:53]
	v_add_f64 v[16:17], v[36:37], v[16:17]
	v_mul_f64 v[36:37], v[42:43], s[38:39]
	v_add_f64 v[8:9], v[12:13], v[8:9]
	v_fma_f64 v[12:13], v[86:87], s[50:51], v[18:19]
	v_add_f64 v[18:19], v[24:25], v[20:21]
	v_fma_f64 v[20:21], v[88:89], s[20:21], -v[115:116]
	v_add_f64 v[14:15], v[2:3], v[14:15]
	v_fma_f64 v[24:25], v[58:59], s[34:35], v[26:27]
	s_mov_b32 s55, 0x3fefdd0d
	s_mov_b32 s54, s56
	v_mul_f64 v[30:31], v[82:83], s[54:55]
	v_add_f64 v[8:9], v[12:13], v[8:9]
	v_mul_f64 v[38:39], v[108:109], s[20:21]
	v_add_f64 v[12:13], v[20:21], v[18:19]
	v_fma_f64 v[18:19], v[84:85], s[28:29], -v[113:114]
	v_fma_f64 v[20:21], v[78:79], s[46:47], v[46:47]
	v_add_f64 v[14:15], v[24:25], v[14:15]
	v_fma_f64 v[24:25], v[66:67], s[54:55], v[28:29]
	v_fma_f64 v[46:47], v[40:41], s[16:17], v[36:37]
	v_mul_f64 v[113:114], v[50:51], s[50:51]
	v_fma_f64 v[44:45], v[72:73], s[52:53], v[30:31]
	v_mul_f64 v[117:118], v[60:61], s[56:57]
	v_add_f64 v[12:13], v[18:19], v[12:13]
	v_fma_f64 v[18:19], v[76:77], s[36:37], -v[34:35]
	v_add_f64 v[20:21], v[20:21], v[8:9]
	v_add_f64 v[14:15], v[24:25], v[14:15]
	v_fma_f64 v[24:25], v[92:93], s[48:49], v[38:39]
	v_mul_f64 v[34:35], v[104:105], s[10:11]
	v_add_f64 v[46:47], v[0:1], v[46:47]
	v_fma_f64 v[115:116], v[48:49], s[28:29], v[113:114]
	v_add_f64 v[8:9], v[44:45], v[16:17]
	v_add_f64 v[12:13], v[18:19], v[12:13]
	v_fma_f64 v[18:19], v[74:75], s[54:55], v[22:23]
	v_fma_f64 v[22:23], v[72:73], s[52:53], -v[30:31]
	v_add_f64 v[16:17], v[24:25], v[14:15]
	v_fma_f64 v[24:25], v[90:91], s[30:31], v[34:35]
	v_fma_f64 v[44:45], v[56:57], s[52:53], v[117:118]
	v_add_f64 v[30:31], v[115:116], v[46:47]
	v_mul_f64 v[46:47], v[106:107], s[22:23]
	v_fma_f64 v[26:27], v[58:59], s[50:51], v[26:27]
	v_add_f64 v[14:15], v[18:19], v[20:21]
	v_add_f64 v[12:13], v[22:23], v[12:13]
	v_fma_f64 v[18:19], v[52:53], s[38:39], v[32:33]
	v_fma_f64 v[22:23], v[40:41], s[16:17], -v[36:37]
	v_mul_f64 v[20:21], v[98:99], s[6:7]
	v_add_f64 v[16:17], v[24:25], v[16:17]
	v_add_f64 v[24:25], v[44:45], v[30:31]
	v_fma_f64 v[30:31], v[64:65], s[20:21], v[46:47]
	v_mul_f64 v[32:33], v[102:103], s[14:15]
	v_fma_f64 v[44:45], v[48:49], s[28:29], -v[113:114]
	v_add_f64 v[18:19], v[2:3], v[18:19]
	v_add_f64 v[22:23], v[0:1], v[22:23]
	v_fma_f64 v[36:37], v[86:87], s[12:13], v[20:21]
	v_mul_f64 v[113:114], v[96:97], s[26:27]
	v_mul_f64 v[115:116], v[100:101], s[24:25]
	v_add_f64 v[24:25], v[30:31], v[24:25]
	v_fma_f64 v[30:31], v[88:89], s[10:11], v[32:33]
	v_mul_f64 v[119:120], v[80:81], s[36:37]
	v_add_f64 v[18:19], v[26:27], v[18:19]
	v_fma_f64 v[26:27], v[66:67], s[56:57], v[28:29]
	v_add_f64 v[22:23], v[44:45], v[22:23]
	v_fma_f64 v[28:29], v[56:57], s[52:53], -v[117:118]
	v_add_f64 v[16:17], v[36:37], v[16:17]
	v_fma_f64 v[36:37], v[78:79], s[44:45], v[113:114]
	v_add_f64 v[24:25], v[30:31], v[24:25]
	v_mul_f64 v[30:31], v[54:55], s[20:21]
	v_fma_f64 v[44:45], v[84:85], s[6:7], v[115:116]
	v_add_f64 v[18:19], v[26:27], v[18:19]
	v_fma_f64 v[26:27], v[92:93], s[22:23], v[38:39]
	v_add_f64 v[22:23], v[28:29], v[22:23]
	v_fma_f64 v[28:29], v[64:65], s[20:21], -v[46:47]
	v_mul_f64 v[38:39], v[94:95], s[42:43]
	v_add_f64 v[16:17], v[36:37], v[16:17]
	v_fma_f64 v[36:37], v[52:53], s[22:23], v[30:31]
	v_mul_f64 v[46:47], v[62:63], s[36:37]
	v_add_f64 v[24:25], v[44:45], v[24:25]
	v_mul_f64 v[44:45], v[42:43], s[48:49]
	v_add_f64 v[18:19], v[26:27], v[18:19]
	v_add_f64 v[22:23], v[28:29], v[22:23]
	v_fma_f64 v[28:29], v[88:89], s[10:11], -v[32:33]
	v_fma_f64 v[26:27], v[90:91], s[14:15], v[34:35]
	v_fma_f64 v[34:35], v[76:77], s[26:27], v[38:39]
	v_add_f64 v[32:33], v[2:3], v[36:37]
	v_fma_f64 v[36:37], v[58:59], s[46:47], v[46:47]
	v_mul_f64 v[117:118], v[110:111], s[10:11]
	v_mul_f64 v[121:122], v[50:51], s[40:41]
	v_fma_f64 v[20:21], v[86:87], s[24:25], v[20:21]
	v_add_f64 v[22:23], v[28:29], v[22:23]
	v_fma_f64 v[28:29], v[84:85], s[6:7], -v[115:116]
	v_fma_f64 v[115:116], v[40:41], s[20:21], v[44:45]
	v_add_f64 v[18:19], v[26:27], v[18:19]
	v_mul_f64 v[26:27], v[82:83], s[46:47]
	v_add_f64 v[32:33], v[36:37], v[32:33]
	v_fma_f64 v[36:37], v[66:67], s[30:31], v[117:118]
	v_mul_f64 v[123:124], v[108:109], s[16:17]
	v_add_f64 v[24:25], v[34:35], v[24:25]
	v_fma_f64 v[34:35], v[74:75], s[40:41], v[119:120]
	v_add_f64 v[115:116], v[0:1], v[115:116]
	v_fma_f64 v[125:126], v[48:49], s[36:37], v[121:122]
	v_mul_f64 v[127:128], v[60:61], s[14:15]
	v_add_f64 v[20:21], v[20:21], v[18:19]
	v_fma_f64 v[129:130], v[72:73], s[36:37], v[26:27]
	v_add_f64 v[22:23], v[28:29], v[22:23]
	v_add_f64 v[28:29], v[36:37], v[32:33]
	v_fma_f64 v[32:33], v[92:93], s[18:19], v[123:124]
	v_mul_f64 v[36:37], v[104:105], s[52:53]
	v_add_f64 v[18:19], v[34:35], v[16:17]
	v_add_f64 v[34:35], v[125:126], v[115:116]
	v_fma_f64 v[115:116], v[56:57], s[10:11], v[127:128]
	v_mul_f64 v[125:126], v[106:107], s[38:39]
	v_fma_f64 v[113:114], v[78:79], s[42:43], v[113:114]
	v_fma_f64 v[38:39], v[76:77], s[26:27], -v[38:39]
	v_add_f64 v[16:17], v[129:130], v[24:25]
	v_add_f64 v[24:25], v[32:33], v[28:29]
	v_fma_f64 v[28:29], v[90:91], s[56:57], v[36:37]
	v_mul_f64 v[129:130], v[102:103], s[54:55]
	v_add_f64 v[34:35], v[115:116], v[34:35]
	v_fma_f64 v[115:116], v[64:65], s[16:17], v[125:126]
	v_mul_f64 v[32:33], v[98:99], s[26:27]
	v_add_f64 v[20:21], v[113:114], v[20:21]
	v_add_f64 v[38:39], v[38:39], v[22:23]
	v_fma_f64 v[22:23], v[74:75], s[46:47], v[119:120]
	v_fma_f64 v[30:31], v[52:53], s[48:49], v[30:31]
	v_add_f64 v[24:25], v[28:29], v[24:25]
	v_fma_f64 v[44:45], v[40:41], s[20:21], -v[44:45]
	v_add_f64 v[28:29], v[115:116], v[34:35]
	v_fma_f64 v[34:35], v[88:89], s[52:53], v[129:130]
	v_mul_f64 v[113:114], v[100:101], s[44:45]
	v_fma_f64 v[115:116], v[86:87], s[42:43], v[32:33]
	v_fma_f64 v[46:47], v[58:59], s[40:41], v[46:47]
	v_add_f64 v[30:31], v[2:3], v[30:31]
	v_mul_f64 v[119:120], v[96:97], s[6:7]
	v_add_f64 v[22:23], v[22:23], v[20:21]
	v_add_f64 v[44:45], v[0:1], v[44:45]
	;; [unrolled: 1-line block ×3, first 2 shown]
	v_fma_f64 v[34:35], v[48:49], s[36:37], -v[121:122]
	v_fma_f64 v[26:27], v[72:73], s[36:37], -v[26:27]
	v_fma_f64 v[28:29], v[84:85], s[26:27], v[113:114]
	v_add_f64 v[30:31], v[46:47], v[30:31]
	v_fma_f64 v[46:47], v[66:67], s[14:15], v[117:118]
	v_add_f64 v[24:25], v[115:116], v[24:25]
	v_fma_f64 v[115:116], v[78:79], s[12:13], v[119:120]
	v_mul_f64 v[117:118], v[80:81], s[28:29]
	v_add_f64 v[34:35], v[34:35], v[44:45]
	v_fma_f64 v[44:45], v[56:57], s[10:11], -v[127:128]
	v_add_f64 v[28:29], v[28:29], v[20:21]
	v_add_f64 v[20:21], v[26:27], v[38:39]
	;; [unrolled: 1-line block ×3, first 2 shown]
	v_fma_f64 v[46:47], v[92:93], s[38:39], v[123:124]
	v_add_f64 v[24:25], v[115:116], v[24:25]
	v_fma_f64 v[115:116], v[74:75], s[34:35], v[117:118]
	v_mul_f64 v[123:124], v[54:55], s[36:37]
	v_add_f64 v[34:35], v[44:45], v[34:35]
	v_fma_f64 v[38:39], v[64:65], s[16:17], -v[125:126]
	v_fma_f64 v[36:37], v[90:91], s[54:55], v[36:37]
	v_mul_f64 v[44:45], v[62:63], s[16:17]
	v_add_f64 v[30:31], v[46:47], v[30:31]
	v_mul_f64 v[121:122], v[94:95], s[24:25]
	v_add_f64 v[26:27], v[115:116], v[24:25]
	v_fma_f64 v[24:25], v[52:53], s[40:41], v[123:124]
	v_fma_f64 v[115:116], v[88:89], s[52:53], -v[129:130]
	v_add_f64 v[34:35], v[38:39], v[34:35]
	v_mul_f64 v[38:39], v[42:43], s[46:47]
	v_fma_f64 v[32:33], v[86:87], s[44:45], v[32:33]
	v_add_f64 v[30:31], v[36:37], v[30:31]
	v_fma_f64 v[36:37], v[58:59], s[38:39], v[44:45]
	v_mul_f64 v[125:126], v[110:111], s[26:27]
	v_add_f64 v[24:25], v[2:3], v[24:25]
	v_fma_f64 v[113:114], v[84:85], s[26:27], -v[113:114]
	v_add_f64 v[34:35], v[115:116], v[34:35]
	v_fma_f64 v[127:128], v[76:77], s[6:7], v[121:122]
	v_mul_f64 v[46:47], v[82:83], s[50:51]
	v_fma_f64 v[129:130], v[40:41], s[36:37], v[38:39]
	v_mul_f64 v[131:132], v[50:51], s[18:19]
	v_add_f64 v[30:31], v[32:33], v[30:31]
	v_add_f64 v[24:25], v[36:37], v[24:25]
	v_fma_f64 v[32:33], v[66:67], s[44:45], v[125:126]
	v_mul_f64 v[36:37], v[108:109], s[28:29]
	v_add_f64 v[34:35], v[113:114], v[34:35]
	v_fma_f64 v[113:114], v[76:77], s[6:7], -v[121:122]
	v_add_f64 v[28:29], v[127:128], v[28:29]
	v_fma_f64 v[127:128], v[72:73], s[28:29], v[46:47]
	v_add_f64 v[115:116], v[0:1], v[129:130]
	v_fma_f64 v[129:130], v[48:49], s[16:17], v[131:132]
	v_mul_f64 v[133:134], v[60:61], s[42:43]
	v_fma_f64 v[119:120], v[78:79], s[24:25], v[119:120]
	v_add_f64 v[24:25], v[32:33], v[24:25]
	v_fma_f64 v[32:33], v[92:93], s[50:51], v[36:37]
	v_add_f64 v[34:35], v[113:114], v[34:35]
	v_fma_f64 v[46:47], v[72:73], s[28:29], -v[46:47]
	v_mul_f64 v[121:122], v[104:105], s[6:7]
	v_add_f64 v[115:116], v[129:130], v[115:116]
	v_fma_f64 v[129:130], v[56:57], s[26:27], v[133:134]
	v_mul_f64 v[135:136], v[106:107], s[34:35]
	v_add_f64 v[30:31], v[119:120], v[30:31]
	v_fma_f64 v[113:114], v[74:75], s[50:51], v[117:118]
	v_add_f64 v[32:33], v[32:33], v[24:25]
	v_add_f64 v[24:25], v[127:128], v[28:29]
	;; [unrolled: 1-line block ×3, first 2 shown]
	v_fma_f64 v[34:35], v[52:53], s[46:47], v[123:124]
	v_fma_f64 v[117:118], v[90:91], s[12:13], v[121:122]
	v_add_f64 v[115:116], v[129:130], v[115:116]
	v_fma_f64 v[119:120], v[64:65], s[28:29], v[135:136]
	v_mul_f64 v[127:128], v[102:103], s[24:25]
	v_add_f64 v[30:31], v[113:114], v[30:31]
	v_mul_f64 v[113:114], v[98:99], s[52:53]
	v_fma_f64 v[38:39], v[40:41], s[36:37], -v[38:39]
	v_fma_f64 v[44:45], v[58:59], s[18:19], v[44:45]
	v_add_f64 v[34:35], v[2:3], v[34:35]
	v_add_f64 v[32:33], v[117:118], v[32:33]
	;; [unrolled: 1-line block ×3, first 2 shown]
	v_fma_f64 v[115:116], v[88:89], s[6:7], v[127:128]
	v_mul_f64 v[117:118], v[100:101], s[54:55]
	v_fma_f64 v[119:120], v[86:87], s[56:57], v[113:114]
	v_mul_f64 v[123:124], v[96:97], s[10:11]
	v_fma_f64 v[129:130], v[48:49], s[16:17], -v[131:132]
	v_add_f64 v[38:39], v[0:1], v[38:39]
	v_add_f64 v[34:35], v[44:45], v[34:35]
	v_fma_f64 v[44:45], v[66:67], s[42:43], v[125:126]
	v_add_f64 v[46:47], v[115:116], v[46:47]
	v_fma_f64 v[115:116], v[84:85], s[52:53], v[117:118]
	v_mul_f64 v[131:132], v[94:95], s[14:15]
	v_add_f64 v[32:33], v[119:120], v[32:33]
	v_fma_f64 v[119:120], v[78:79], s[30:31], v[123:124]
	v_add_f64 v[38:39], v[129:130], v[38:39]
	v_fma_f64 v[125:126], v[56:57], s[26:27], -v[133:134]
	v_add_f64 v[34:35], v[44:45], v[34:35]
	v_fma_f64 v[36:37], v[92:93], s[34:35], v[36:37]
	v_add_f64 v[46:47], v[115:116], v[46:47]
	v_fma_f64 v[115:116], v[76:77], s[10:11], v[131:132]
	v_mul_f64 v[129:130], v[80:81], s[20:21]
	v_add_f64 v[32:33], v[119:120], v[32:33]
	v_mul_f64 v[119:120], v[54:55], s[52:53]
	v_add_f64 v[38:39], v[125:126], v[38:39]
	v_fma_f64 v[44:45], v[64:65], s[28:29], -v[135:136]
	v_add_f64 v[36:37], v[36:37], v[34:35]
	v_fma_f64 v[121:122], v[90:91], s[24:25], v[121:122]
	v_add_f64 v[46:47], v[115:116], v[46:47]
	v_fma_f64 v[115:116], v[74:75], s[22:23], v[129:130]
	v_mul_f64 v[125:126], v[82:83], s[48:49]
	v_fma_f64 v[133:134], v[52:53], s[54:55], v[119:120]
	v_mul_f64 v[135:136], v[62:63], s[6:7]
	v_add_f64 v[38:39], v[44:45], v[38:39]
	v_fma_f64 v[44:45], v[88:89], s[6:7], -v[127:128]
	v_add_f64 v[36:37], v[121:122], v[36:37]
	v_fma_f64 v[113:114], v[86:87], s[54:55], v[113:114]
	v_add_f64 v[34:35], v[115:116], v[32:33]
	v_fma_f64 v[32:33], v[72:73], s[20:21], v[125:126]
	;; [unrolled: 2-line block ×3, first 2 shown]
	v_mul_f64 v[133:134], v[110:111], s[36:37]
	v_add_f64 v[38:39], v[44:45], v[38:39]
	v_fma_f64 v[44:45], v[84:85], s[52:53], -v[117:118]
	v_mul_f64 v[117:118], v[42:43], s[56:57]
	v_add_f64 v[36:37], v[113:114], v[36:37]
	v_fma_f64 v[113:114], v[78:79], s[14:15], v[123:124]
	v_add_f64 v[32:33], v[32:33], v[46:47]
	v_add_f64 v[46:47], v[127:128], v[115:116]
	v_mul_f64 v[123:124], v[50:51], s[24:25]
	v_fma_f64 v[127:128], v[76:77], s[10:11], -v[131:132]
	v_add_f64 v[38:39], v[44:45], v[38:39]
	v_fma_f64 v[44:45], v[40:41], s[52:53], v[117:118]
	v_mul_f64 v[137:138], v[60:61], s[40:41]
	v_add_f64 v[36:37], v[113:114], v[36:37]
	v_fma_f64 v[113:114], v[74:75], s[48:49], v[129:130]
	v_fma_f64 v[115:116], v[66:67], s[46:47], v[133:134]
	;; [unrolled: 1-line block ×3, first 2 shown]
	v_mul_f64 v[121:122], v[108:109], s[10:11]
	v_add_f64 v[127:128], v[127:128], v[38:39]
	v_add_f64 v[44:45], v[0:1], v[44:45]
	v_mul_f64 v[131:132], v[104:105], s[28:29]
	v_fma_f64 v[123:124], v[48:49], s[6:7], -v[123:124]
	v_add_f64 v[38:39], v[113:114], v[36:37]
	v_fma_f64 v[36:37], v[52:53], s[56:57], v[119:120]
	v_fma_f64 v[113:114], v[40:41], s[52:53], -v[117:118]
	v_fma_f64 v[117:118], v[56:57], s[36:37], v[137:138]
	v_mul_f64 v[119:120], v[106:107], s[30:31]
	v_add_f64 v[44:45], v[129:130], v[44:45]
	v_fma_f64 v[129:130], v[58:59], s[24:25], v[135:136]
	v_add_f64 v[46:47], v[115:116], v[46:47]
	v_fma_f64 v[115:116], v[92:93], s[14:15], v[121:122]
	v_add_f64 v[36:37], v[2:3], v[36:37]
	v_add_f64 v[113:114], v[0:1], v[113:114]
	v_mul_f64 v[135:136], v[102:103], s[34:35]
	v_fma_f64 v[125:126], v[72:73], s[20:21], -v[125:126]
	v_add_f64 v[44:45], v[117:118], v[44:45]
	v_fma_f64 v[117:118], v[64:65], s[10:11], v[119:120]
	v_fma_f64 v[121:122], v[92:93], s[30:31], v[121:122]
	v_add_f64 v[46:47], v[115:116], v[46:47]
	v_add_f64 v[36:37], v[129:130], v[36:37]
	v_fma_f64 v[129:130], v[66:67], s[40:41], v[133:134]
	v_fma_f64 v[115:116], v[90:91], s[50:51], v[131:132]
	v_add_f64 v[113:114], v[123:124], v[113:114]
	v_fma_f64 v[123:124], v[56:57], s[36:37], -v[137:138]
	v_add_f64 v[44:45], v[117:118], v[44:45]
	v_fma_f64 v[117:118], v[88:89], s[28:29], v[135:136]
	v_mul_f64 v[133:134], v[100:101], s[38:39]
	v_fma_f64 v[119:120], v[64:65], s[10:11], -v[119:120]
	v_add_f64 v[129:130], v[129:130], v[36:37]
	v_add_f64 v[46:47], v[115:116], v[46:47]
	v_mul_f64 v[115:116], v[98:99], s[16:17]
	v_add_f64 v[113:114], v[123:124], v[113:114]
	v_add_f64 v[36:37], v[125:126], v[127:128]
	;; [unrolled: 1-line block ×3, first 2 shown]
	v_fma_f64 v[117:118], v[84:85], s[16:17], v[133:134]
	v_fma_f64 v[125:126], v[90:91], s[34:35], v[131:132]
	v_add_f64 v[121:122], v[121:122], v[129:130]
	v_mul_f64 v[141:142], v[96:97], s[20:21]
	v_fma_f64 v[139:140], v[86:87], s[18:19], v[115:116]
	v_mul_f64 v[123:124], v[94:95], s[22:23]
	v_add_f64 v[113:114], v[119:120], v[113:114]
	v_fma_f64 v[119:120], v[88:89], s[28:29], -v[135:136]
	v_add_f64 v[44:45], v[117:118], v[44:45]
	v_mul_f64 v[117:118], v[54:55], s[28:29]
	v_add_f64 v[121:122], v[125:126], v[121:122]
	v_fma_f64 v[115:116], v[86:87], s[38:39], v[115:116]
	v_add_f64 v[46:47], v[139:140], v[46:47]
	v_fma_f64 v[137:138], v[78:79], s[48:49], v[141:142]
	v_fma_f64 v[127:128], v[76:77], s[20:21], v[123:124]
	v_mul_f64 v[129:130], v[80:81], s[26:27]
	v_add_f64 v[113:114], v[119:120], v[113:114]
	v_fma_f64 v[119:120], v[84:85], s[16:17], -v[133:134]
	v_fma_f64 v[125:126], v[52:53], s[50:51], v[117:118]
	v_mul_f64 v[133:134], v[62:63], s[20:21]
	v_add_f64 v[115:116], v[115:116], v[121:122]
	v_fma_f64 v[121:122], v[78:79], s[22:23], v[141:142]
	v_add_f64 v[46:47], v[137:138], v[46:47]
	v_mul_f64 v[131:132], v[82:83], s[42:43]
	v_add_f64 v[44:45], v[127:128], v[44:45]
	v_fma_f64 v[127:128], v[74:75], s[44:45], v[129:130]
	v_add_f64 v[113:114], v[119:120], v[113:114]
	v_add_f64 v[119:120], v[2:3], v[125:126]
	v_fma_f64 v[125:126], v[58:59], s[22:23], v[133:134]
	v_mul_f64 v[137:138], v[110:111], s[6:7]
	v_fma_f64 v[123:124], v[76:77], s[20:21], -v[123:124]
	v_mul_f64 v[139:140], v[42:43], s[34:35]
	v_add_f64 v[115:116], v[121:122], v[115:116]
	v_fma_f64 v[121:122], v[74:75], s[42:43], v[129:130]
	v_fma_f64 v[135:136], v[72:73], s[26:27], v[131:132]
	v_add_f64 v[46:47], v[127:128], v[46:47]
	v_add_f64 v[119:120], v[125:126], v[119:120]
	v_fma_f64 v[125:126], v[66:67], s[24:25], v[137:138]
	v_add_f64 v[113:114], v[123:124], v[113:114]
	v_fma_f64 v[123:124], v[40:41], s[28:29], v[139:140]
	v_mul_f64 v[127:128], v[50:51], s[48:49]
	v_add_f64 v[115:116], v[121:122], v[115:116]
	v_fma_f64 v[117:118], v[52:53], s[34:35], v[117:118]
	v_fma_f64 v[121:122], v[40:41], s[28:29], -v[139:140]
	v_add_f64 v[44:45], v[135:136], v[44:45]
	v_add_f64 v[119:120], v[125:126], v[119:120]
	v_mul_f64 v[135:136], v[60:61], s[12:13]
	v_add_f64 v[123:124], v[0:1], v[123:124]
	v_fma_f64 v[125:126], v[48:49], s[20:21], v[127:128]
	v_fma_f64 v[133:134], v[58:59], s[48:49], v[133:134]
	v_add_f64 v[117:118], v[2:3], v[117:118]
	v_fma_f64 v[127:128], v[48:49], s[20:21], -v[127:128]
	v_add_f64 v[121:122], v[0:1], v[121:122]
	v_fma_f64 v[129:130], v[72:73], s[26:27], -v[131:132]
	v_mul_f64 v[131:132], v[108:109], s[36:37]
	v_mul_f64 v[143:144], v[106:107], s[40:41]
	v_add_f64 v[123:124], v[125:126], v[123:124]
	v_fma_f64 v[125:126], v[56:57], s[6:7], v[135:136]
	v_add_f64 v[117:118], v[133:134], v[117:118]
	v_fma_f64 v[133:134], v[66:67], s[12:13], v[137:138]
	v_add_f64 v[121:122], v[127:128], v[121:122]
	v_fma_f64 v[127:128], v[56:57], s[6:7], -v[135:136]
	v_fma_f64 v[139:140], v[92:93], s[46:47], v[131:132]
	v_mul_f64 v[141:142], v[104:105], s[26:27]
	v_mul_f64 v[137:138], v[102:103], s[42:43]
	v_add_f64 v[123:124], v[125:126], v[123:124]
	v_fma_f64 v[125:126], v[64:65], s[36:37], v[143:144]
	v_add_f64 v[117:118], v[133:134], v[117:118]
	v_fma_f64 v[131:132], v[92:93], s[40:41], v[131:132]
	v_add_f64 v[121:122], v[127:128], v[121:122]
	v_fma_f64 v[127:128], v[64:65], s[36:37], -v[143:144]
	v_add_f64 v[119:120], v[139:140], v[119:120]
	v_fma_f64 v[135:136], v[90:91], s[44:45], v[141:142]
	v_mul_f64 v[139:140], v[98:99], s[10:11]
	v_add_f64 v[123:124], v[125:126], v[123:124]
	v_fma_f64 v[125:126], v[88:89], s[26:27], v[137:138]
	v_mul_f64 v[133:134], v[100:101], s[14:15]
	v_add_f64 v[117:118], v[131:132], v[117:118]
	v_fma_f64 v[131:132], v[90:91], s[42:43], v[141:142]
	v_add_f64 v[121:122], v[127:128], v[121:122]
	v_fma_f64 v[127:128], v[88:89], s[26:27], -v[137:138]
	v_add_f64 v[119:120], v[135:136], v[119:120]
	v_fma_f64 v[135:136], v[86:87], s[30:31], v[139:140]
	v_mul_f64 v[137:138], v[96:97], s[52:53]
	v_add_f64 v[123:124], v[125:126], v[123:124]
	v_fma_f64 v[125:126], v[84:85], s[10:11], v[133:134]
	v_mul_f64 v[141:142], v[94:95], s[56:57]
	v_add_f64 v[117:118], v[131:132], v[117:118]
	v_fma_f64 v[131:132], v[86:87], s[14:15], v[139:140]
	v_add_f64 v[121:122], v[127:128], v[121:122]
	v_fma_f64 v[127:128], v[84:85], s[10:11], -v[133:134]
	v_add_f64 v[119:120], v[135:136], v[119:120]
	v_fma_f64 v[133:134], v[78:79], s[54:55], v[137:138]
	v_add_f64 v[123:124], v[125:126], v[123:124]
	v_fma_f64 v[125:126], v[76:77], s[52:53], v[141:142]
	v_mul_f64 v[135:136], v[80:81], s[16:17]
	v_mul_f64 v[139:140], v[82:83], s[38:39]
	v_add_f64 v[117:118], v[131:132], v[117:118]
	v_fma_f64 v[131:132], v[78:79], s[56:57], v[137:138]
	v_add_f64 v[121:122], v[127:128], v[121:122]
	v_fma_f64 v[127:128], v[76:77], s[52:53], -v[141:142]
	v_add_f64 v[113:114], v[129:130], v[113:114]
	v_mul_f64 v[129:130], v[54:55], s[26:27]
	v_add_f64 v[119:120], v[133:134], v[119:120]
	v_add_f64 v[123:124], v[125:126], v[123:124]
	v_fma_f64 v[125:126], v[74:75], s[18:19], v[135:136]
	v_fma_f64 v[133:134], v[72:73], s[16:17], v[139:140]
	v_add_f64 v[131:132], v[131:132], v[117:118]
	v_add_f64 v[121:122], v[127:128], v[121:122]
	v_fma_f64 v[127:128], v[74:75], s[38:39], v[135:136]
	v_fma_f64 v[135:136], v[72:73], s[16:17], -v[139:140]
	v_fma_f64 v[137:138], v[52:53], s[44:45], v[129:130]
	v_mul_f64 v[139:140], v[62:63], s[52:53]
	v_add_f64 v[119:120], v[125:126], v[119:120]
	v_add_f64 v[117:118], v[133:134], v[123:124]
	v_mul_f64 v[54:55], v[54:55], s[10:11]
	v_mul_f64 v[125:126], v[42:43], s[44:45]
	v_add_f64 v[123:124], v[127:128], v[131:132]
	v_mul_f64 v[133:134], v[110:111], s[20:21]
	v_add_f64 v[127:128], v[2:3], v[137:138]
	v_fma_f64 v[131:132], v[58:59], s[56:57], v[139:140]
	v_add_f64 v[121:122], v[135:136], v[121:122]
	v_fma_f64 v[129:130], v[52:53], s[42:43], v[129:130]
	v_fma_f64 v[135:136], v[52:53], s[30:31], v[54:55]
	v_fma_f64 v[137:138], v[40:41], s[26:27], -v[125:126]
	v_mul_f64 v[141:142], v[50:51], s[56:57]
	v_fma_f64 v[52:53], v[52:53], s[14:15], v[54:55]
	v_mul_f64 v[42:43], v[42:43], s[14:15]
	v_add_f64 v[54:55], v[131:132], v[127:128]
	v_fma_f64 v[127:128], v[66:67], s[48:49], v[133:134]
	v_mul_f64 v[131:132], v[108:109], s[6:7]
	v_fma_f64 v[125:126], v[40:41], s[26:27], v[125:126]
	v_add_f64 v[137:138], v[0:1], v[137:138]
	v_fma_f64 v[143:144], v[48:49], s[52:53], -v[141:142]
	v_mul_f64 v[145:146], v[60:61], s[48:49]
	v_fma_f64 v[147:148], v[40:41], s[10:11], v[42:43]
	v_fma_f64 v[40:41], v[40:41], s[10:11], -v[42:43]
	v_add_f64 v[42:43], v[127:128], v[54:55]
	v_fma_f64 v[54:55], v[92:93], s[24:25], v[131:132]
	v_mul_f64 v[127:128], v[104:105], s[16:17]
	v_mul_f64 v[149:150], v[106:107], s[24:25]
	v_add_f64 v[137:138], v[143:144], v[137:138]
	v_fma_f64 v[143:144], v[56:57], s[20:21], -v[145:146]
	v_mul_f64 v[151:152], v[98:99], s[36:37]
	v_add_f64 v[129:130], v[2:3], v[129:130]
	v_add_f64 v[135:136], v[2:3], v[135:136]
	;; [unrolled: 1-line block ×3, first 2 shown]
	v_fma_f64 v[54:55], v[90:91], s[18:19], v[127:128]
	v_mul_f64 v[153:154], v[102:103], s[18:19]
	v_add_f64 v[2:3], v[2:3], v[52:53]
	v_add_f64 v[137:138], v[143:144], v[137:138]
	v_fma_f64 v[143:144], v[64:65], s[6:7], -v[149:150]
	v_mul_f64 v[52:53], v[62:63], s[26:27]
	v_mul_f64 v[50:51], v[50:51], s[44:45]
	v_add_f64 v[125:126], v[0:1], v[125:126]
	v_add_f64 v[42:43], v[54:55], v[42:43]
	v_fma_f64 v[54:55], v[86:87], s[40:41], v[151:152]
	v_add_f64 v[147:148], v[0:1], v[147:148]
	v_add_f64 v[0:1], v[0:1], v[40:41]
	;; [unrolled: 1-line block ×3, first 2 shown]
	v_fma_f64 v[62:63], v[88:89], s[16:17], -v[153:154]
	v_mul_f64 v[137:138], v[100:101], s[40:41]
	v_fma_f64 v[143:144], v[58:59], s[44:45], v[52:53]
	v_mul_f64 v[110:111], v[110:111], s[28:29]
	v_add_f64 v[42:43], v[54:55], v[42:43]
	v_fma_f64 v[54:55], v[48:49], s[26:27], -v[50:51]
	v_mul_f64 v[60:61], v[60:61], s[34:35]
	v_mul_f64 v[108:109], v[108:109], s[52:53]
	v_add_f64 v[40:41], v[62:63], v[40:41]
	v_fma_f64 v[62:63], v[84:85], s[36:37], -v[137:138]
	v_add_f64 v[2:3], v[143:144], v[2:3]
	v_fma_f64 v[143:144], v[66:67], s[34:35], v[110:111]
	v_mul_f64 v[106:107], v[106:107], s[56:57]
	v_add_f64 v[0:1], v[54:55], v[0:1]
	v_fma_f64 v[54:55], v[56:57], s[28:29], -v[60:61]
	v_mul_f64 v[159:160], v[94:95], s[50:51]
	v_mul_f64 v[104:105], v[104:105], s[36:37]
	v_add_f64 v[40:41], v[62:63], v[40:41]
	v_fma_f64 v[62:63], v[92:93], s[56:57], v[108:109]
	v_add_f64 v[2:3], v[143:144], v[2:3]
	v_mul_f64 v[102:103], v[102:103], s[46:47]
	v_fma_f64 v[139:140], v[58:59], s[54:55], v[139:140]
	v_add_f64 v[0:1], v[54:55], v[0:1]
	v_fma_f64 v[54:55], v[64:65], s[52:53], -v[106:107]
	v_fma_f64 v[143:144], v[76:77], s[28:29], -v[159:160]
	v_mul_f64 v[98:99], v[98:99], s[20:21]
	v_mul_f64 v[155:156], v[96:97], s[28:29]
	v_add_f64 v[2:3], v[62:63], v[2:3]
	v_fma_f64 v[62:63], v[90:91], s[46:47], v[104:105]
	v_mul_f64 v[96:97], v[96:97], s[16:17]
	v_fma_f64 v[52:53], v[58:59], s[42:43], v[52:53]
	v_add_f64 v[0:1], v[54:55], v[0:1]
	v_fma_f64 v[54:55], v[88:89], s[36:37], -v[102:103]
	v_add_f64 v[143:144], v[143:144], v[40:41]
	v_mul_f64 v[40:41], v[100:101], s[48:49]
	v_add_f64 v[100:101], v[139:140], v[129:130]
	v_fma_f64 v[129:130], v[66:67], s[22:23], v[133:134]
	v_add_f64 v[2:3], v[62:63], v[2:3]
	v_fma_f64 v[62:63], v[86:87], s[48:49], v[98:99]
	v_fma_f64 v[58:59], v[56:57], s[20:21], v[145:146]
	v_add_f64 v[0:1], v[54:55], v[0:1]
	v_fma_f64 v[54:55], v[48:49], s[52:53], v[141:142]
	v_fma_f64 v[48:49], v[48:49], s[26:27], v[50:51]
	;; [unrolled: 1-line block ×3, first 2 shown]
	v_add_f64 v[100:101], v[129:130], v[100:101]
	v_fma_f64 v[129:130], v[92:93], s[12:13], v[131:132]
	v_add_f64 v[2:3], v[62:63], v[2:3]
	v_fma_f64 v[62:63], v[78:79], s[38:39], v[96:97]
	v_add_f64 v[52:53], v[52:53], v[135:136]
	v_add_f64 v[54:55], v[54:55], v[125:126]
	v_fma_f64 v[56:57], v[56:57], s[28:29], v[60:61]
	v_add_f64 v[48:49], v[48:49], v[147:148]
	v_fma_f64 v[127:128], v[90:91], s[38:39], v[127:128]
	v_add_f64 v[100:101], v[129:130], v[100:101]
	v_fma_f64 v[133:134], v[84:85], s[20:21], -v[40:41]
	v_mul_f64 v[94:95], v[94:95], s[38:39]
	v_add_f64 v[52:53], v[66:67], v[52:53]
	v_add_f64 v[50:51], v[58:59], v[54:55]
	v_fma_f64 v[54:55], v[64:65], s[6:7], v[149:150]
	v_add_f64 v[58:59], v[62:63], v[2:3]
	v_fma_f64 v[62:63], v[92:93], s[54:55], v[108:109]
	v_fma_f64 v[64:65], v[64:65], s[52:53], v[106:107]
	v_add_f64 v[48:49], v[56:57], v[48:49]
	v_add_f64 v[2:3], v[127:128], v[100:101]
	v_fma_f64 v[66:67], v[90:91], s[40:41], v[104:105]
	v_fma_f64 v[56:57], v[86:87], s[46:47], v[151:152]
	v_add_f64 v[50:51], v[54:55], v[50:51]
	v_fma_f64 v[54:55], v[88:89], s[16:17], v[153:154]
	v_add_f64 v[52:53], v[62:63], v[52:53]
	;; [unrolled: 2-line block ×3, first 2 shown]
	v_fma_f64 v[88:89], v[84:85], s[36:37], v[137:138]
	v_fma_f64 v[40:41], v[84:85], s[20:21], v[40:41]
	v_add_f64 v[2:3], v[56:57], v[2:3]
	v_fma_f64 v[56:57], v[86:87], s[22:23], v[98:99]
	v_add_f64 v[50:51], v[54:55], v[50:51]
	v_add_f64 v[52:53], v[66:67], v[52:53]
	v_fma_f64 v[157:158], v[78:79], s[50:51], v[155:156]
	v_add_f64 v[48:49], v[62:63], v[48:49]
	v_add_f64 v[0:1], v[133:134], v[0:1]
	v_fma_f64 v[125:126], v[76:77], s[16:17], -v[94:95]
	v_mul_f64 v[60:61], v[80:81], s[10:11]
	v_mul_f64 v[64:65], v[80:81], s[6:7]
	;; [unrolled: 1-line block ×4, first 2 shown]
	v_add_f64 v[50:51], v[88:89], v[50:51]
	v_fma_f64 v[62:63], v[78:79], s[34:35], v[155:156]
	v_fma_f64 v[66:67], v[76:77], s[28:29], v[159:160]
	;; [unrolled: 1-line block ×3, first 2 shown]
	v_add_f64 v[52:53], v[56:57], v[52:53]
	v_fma_f64 v[76:77], v[76:77], s[16:17], v[94:95]
	v_add_f64 v[40:41], v[40:41], v[48:49]
	v_add_f64 v[42:43], v[157:158], v[42:43]
	;; [unrolled: 1-line block ×3, first 2 shown]
	v_fma_f64 v[54:55], v[74:75], s[30:31], v[60:61]
	v_fma_f64 v[82:83], v[74:75], s[24:25], v[64:65]
	v_fma_f64 v[56:57], v[72:73], s[6:7], -v[80:81]
	v_fma_f64 v[92:93], v[72:73], s[10:11], -v[90:91]
	v_add_f64 v[48:49], v[62:63], v[2:3]
	v_add_f64 v[62:63], v[66:67], v[50:51]
	v_fma_f64 v[50:51], v[74:75], s[14:15], v[60:61]
	v_fma_f64 v[60:61], v[74:75], s[12:13], v[64:65]
	v_add_f64 v[52:53], v[78:79], v[52:53]
	v_fma_f64 v[64:65], v[72:73], s[10:11], v[90:91]
	v_fma_f64 v[66:67], v[72:73], s[6:7], v[80:81]
	v_add_f64 v[72:73], v[76:77], v[40:41]
	v_add_f64 v[2:3], v[54:55], v[42:43]
	;; [unrolled: 1-line block ×5, first 2 shown]
	v_lshl_add_u32 v56, v68, 8, v112
	v_add_f64 v[50:51], v[50:51], v[48:49]
	v_add_f64 v[48:49], v[64:65], v[62:63]
	;; [unrolled: 1-line block ×4, first 2 shown]
	ds_write_b128 v56, v[4:7]
	ds_write_b128 v56, v[40:43] offset:16
	ds_write_b128 v56, v[0:3] offset:32
	;; [unrolled: 1-line block ×16, first 2 shown]
.LBB0_13:
	s_or_b64 exec, exec, s[4:5]
	s_movk_i32 s4, 0xf1
	v_mul_lo_u16_sdwa v0, v68, s4 dst_sel:DWORD dst_unused:UNUSED_PAD src0_sel:BYTE_0 src1_sel:DWORD
	v_lshrrev_b16_e32 v69, 12, v0
	v_mul_lo_u16_e32 v0, 17, v69
	v_sub_u16_e32 v100, v68, v0
	v_mov_b32_e32 v24, 5
	v_lshlrev_b32_sdwa v8, v24, v100 dst_sel:DWORD dst_unused:UNUSED_PAD src0_sel:DWORD src1_sel:BYTE_0
	s_waitcnt lgkmcnt(0)
	; wave barrier
	s_waitcnt lgkmcnt(0)
	global_load_dwordx4 v[0:3], v8, s[8:9] offset:16
	global_load_dwordx4 v[4:7], v8, s[8:9]
	v_add_u16_e32 v8, 51, v68
	v_mul_lo_u16_sdwa v9, v8, s4 dst_sel:DWORD dst_unused:UNUSED_PAD src0_sel:BYTE_0 src1_sel:DWORD
	v_lshrrev_b16_e32 v101, 12, v9
	v_mul_lo_u16_e32 v9, 17, v101
	v_sub_u16_e32 v102, v8, v9
	v_lshlrev_b32_sdwa v16, v24, v102 dst_sel:DWORD dst_unused:UNUSED_PAD src0_sel:DWORD src1_sel:BYTE_0
	global_load_dwordx4 v[8:11], v16, s[8:9] offset:16
	global_load_dwordx4 v[12:15], v16, s[8:9]
	v_add_u16_e32 v16, 0x66, v68
	v_mul_lo_u16_sdwa v17, v16, s4 dst_sel:DWORD dst_unused:UNUSED_PAD src0_sel:BYTE_0 src1_sel:DWORD
	v_lshrrev_b16_e32 v103, 12, v17
	v_mul_lo_u16_e32 v17, 17, v103
	v_sub_u16_e32 v104, v16, v17
	v_lshlrev_b32_sdwa v25, v24, v104 dst_sel:DWORD dst_unused:UNUSED_PAD src0_sel:DWORD src1_sel:BYTE_0
	;; [unrolled: 8-line block ×3, first 2 shown]
	global_load_dwordx4 v[24:27], v32, s[8:9]
	global_load_dwordx4 v[28:31], v32, s[8:9] offset:16
	ds_read_b128 v[32:35], v112
	ds_read_b128 v[36:39], v112 offset:816
	ds_read_b128 v[40:43], v112 offset:3264
	ds_read_b128 v[44:47], v112 offset:4080
	ds_read_b128 v[48:51], v112 offset:6528
	ds_read_b128 v[52:55], v112 offset:7344
	ds_read_b128 v[56:59], v112 offset:1632
	ds_read_b128 v[60:63], v112 offset:2448
	ds_read_b128 v[64:67], v112 offset:4896
	ds_read_b128 v[72:75], v112 offset:5712
	ds_read_b128 v[76:79], v112 offset:8160
	ds_read_b128 v[80:83], v112 offset:8976
	s_mov_b32 s4, 0xe8584caa
	s_mov_b32 s5, 0x3febb67a
	;; [unrolled: 1-line block ×4, first 2 shown]
	s_waitcnt lgkmcnt(0)
	; wave barrier
	s_waitcnt vmcnt(7) lgkmcnt(0)
	v_mul_f64 v[86:87], v[50:51], v[2:3]
	s_waitcnt vmcnt(6)
	v_mul_f64 v[84:85], v[42:43], v[6:7]
	v_mul_f64 v[6:7], v[40:41], v[6:7]
	v_mul_f64 v[2:3], v[48:49], v[2:3]
	s_waitcnt vmcnt(5)
	v_mul_f64 v[90:91], v[54:55], v[10:11]
	s_waitcnt vmcnt(4)
	v_mul_f64 v[88:89], v[46:47], v[14:15]
	v_mul_f64 v[14:15], v[44:45], v[14:15]
	;; [unrolled: 1-line block ×3, first 2 shown]
	v_fma_f64 v[40:41], v[40:41], v[4:5], -v[84:85]
	v_fma_f64 v[4:5], v[42:43], v[4:5], v[6:7]
	v_fma_f64 v[6:7], v[48:49], v[0:1], -v[86:87]
	s_waitcnt vmcnt(3)
	v_mul_f64 v[94:95], v[78:79], v[18:19]
	s_waitcnt vmcnt(2)
	v_mul_f64 v[92:93], v[66:67], v[22:23]
	v_mul_f64 v[22:23], v[64:65], v[22:23]
	;; [unrolled: 1-line block ×3, first 2 shown]
	v_fma_f64 v[2:3], v[50:51], v[0:1], v[2:3]
	v_fma_f64 v[0:1], v[44:45], v[12:13], -v[88:89]
	v_fma_f64 v[12:13], v[46:47], v[12:13], v[14:15]
	v_fma_f64 v[14:15], v[52:53], v[8:9], -v[90:91]
	s_waitcnt vmcnt(0)
	v_mul_f64 v[98:99], v[82:83], v[30:31]
	v_mul_f64 v[30:31], v[80:81], v[30:31]
	;; [unrolled: 1-line block ×4, first 2 shown]
	v_fma_f64 v[8:9], v[54:55], v[8:9], v[10:11]
	v_fma_f64 v[10:11], v[64:65], v[20:21], -v[92:93]
	v_fma_f64 v[42:43], v[66:67], v[20:21], v[22:23]
	v_fma_f64 v[44:45], v[76:77], v[16:17], -v[94:95]
	;; [unrolled: 2-line block ×3, first 2 shown]
	v_fma_f64 v[54:55], v[82:83], v[28:29], v[30:31]
	v_add_f64 v[16:17], v[32:33], v[40:41]
	v_add_f64 v[18:19], v[40:41], v[6:7]
	v_add_f64 v[20:21], v[4:5], -v[2:3]
	v_add_f64 v[22:23], v[34:35], v[4:5]
	v_add_f64 v[4:5], v[4:5], v[2:3]
	;; [unrolled: 1-line block ×3, first 2 shown]
	v_fma_f64 v[48:49], v[72:73], v[24:25], -v[96:97]
	v_fma_f64 v[50:51], v[74:75], v[24:25], v[26:27]
	v_add_f64 v[24:25], v[40:41], -v[6:7]
	v_add_f64 v[26:27], v[36:37], v[0:1]
	v_add_f64 v[30:31], v[12:13], -v[8:9]
	v_add_f64 v[40:41], v[38:39], v[12:13]
	v_add_f64 v[12:13], v[12:13], v[8:9]
	v_add_f64 v[64:65], v[0:1], -v[14:15]
	v_add_f64 v[0:1], v[16:17], v[6:7]
	v_fma_f64 v[16:17], v[18:19], -0.5, v[32:33]
	v_add_f64 v[2:3], v[22:23], v[2:3]
	v_fma_f64 v[18:19], v[4:5], -0.5, v[34:35]
	v_fma_f64 v[22:23], v[28:29], -0.5, v[36:37]
	v_add_f64 v[66:67], v[56:57], v[10:11]
	v_add_f64 v[72:73], v[10:11], v[44:45]
	;; [unrolled: 1-line block ×5, first 2 shown]
	v_fma_f64 v[26:27], v[12:13], -0.5, v[38:39]
	v_fma_f64 v[12:13], v[20:21], s[4:5], v[16:17]
	v_fma_f64 v[16:17], v[20:21], s[6:7], v[16:17]
	;; [unrolled: 1-line block ×6, first 2 shown]
	v_add_f64 v[30:31], v[50:51], v[54:55]
	v_add_f64 v[34:35], v[58:59], v[42:43]
	v_add_f64 v[74:75], v[42:43], -v[46:47]
	v_add_f64 v[6:7], v[40:41], v[8:9]
	v_add_f64 v[8:9], v[66:67], v[44:45]
	v_fma_f64 v[32:33], v[72:73], -0.5, v[56:57]
	v_fma_f64 v[36:37], v[76:77], -0.5, v[58:59]
	v_add_f64 v[38:39], v[10:11], -v[44:45]
	v_add_f64 v[40:41], v[60:61], v[48:49]
	v_fma_f64 v[42:43], v[78:79], -0.5, v[60:61]
	v_add_f64 v[44:45], v[50:51], -v[54:55]
	v_fma_f64 v[56:57], v[30:31], -0.5, v[62:63]
	v_add_f64 v[48:49], v[48:49], -v[52:53]
	v_add_f64 v[50:51], v[62:63], v[50:51]
	v_fma_f64 v[22:23], v[64:65], s[6:7], v[26:27]
	v_fma_f64 v[26:27], v[64:65], s[4:5], v[26:27]
	v_add_f64 v[10:11], v[34:35], v[46:47]
	v_fma_f64 v[28:29], v[74:75], s[4:5], v[32:33]
	v_fma_f64 v[30:31], v[38:39], s[6:7], v[36:37]
	v_fma_f64 v[34:35], v[38:39], s[4:5], v[36:37]
	v_add_f64 v[36:37], v[40:41], v[52:53]
	v_fma_f64 v[40:41], v[44:45], s[4:5], v[42:43]
	v_fma_f64 v[44:45], v[44:45], s[6:7], v[42:43]
	;; [unrolled: 1-line block ×4, first 2 shown]
	v_mov_b32_e32 v49, 4
	v_fma_f64 v[32:33], v[74:75], s[6:7], v[32:33]
	v_add_f64 v[38:39], v[50:51], v[54:55]
	v_mul_u32_u24_e32 v48, 0x330, v69
	v_lshlrev_b32_sdwa v50, v49, v100 dst_sel:DWORD dst_unused:UNUSED_PAD src0_sel:DWORD src1_sel:BYTE_0
	v_add3_u32 v48, 0, v48, v50
	ds_write_b128 v48, v[0:3]
	ds_write_b128 v48, v[12:15] offset:272
	ds_write_b128 v48, v[16:19] offset:544
	v_mul_u32_u24_e32 v0, 0x330, v101
	v_lshlrev_b32_sdwa v1, v49, v102 dst_sel:DWORD dst_unused:UNUSED_PAD src0_sel:DWORD src1_sel:BYTE_0
	v_add3_u32 v0, 0, v0, v1
	ds_write_b128 v0, v[4:7]
	ds_write_b128 v0, v[20:23] offset:272
	ds_write_b128 v0, v[24:27] offset:544
	;; [unrolled: 6-line block ×4, first 2 shown]
	v_mul_u32_u24_e32 v0, 5, v68
	v_lshlrev_b32_e32 v20, 4, v0
	s_waitcnt lgkmcnt(0)
	; wave barrier
	s_waitcnt lgkmcnt(0)
	global_load_dwordx4 v[0:3], v20, s[8:9] offset:544
	global_load_dwordx4 v[4:7], v20, s[8:9] offset:560
	;; [unrolled: 1-line block ×5, first 2 shown]
	ds_read_b128 v[20:23], v112
	ds_read_b128 v[24:27], v112 offset:816
	ds_read_b128 v[28:31], v112 offset:1632
	;; [unrolled: 1-line block ×11, first 2 shown]
	v_mov_b32_e32 v69, 0
	s_waitcnt lgkmcnt(0)
	; wave barrier
	s_waitcnt vmcnt(4) lgkmcnt(0)
	v_mul_f64 v[72:73], v[30:31], v[2:3]
	s_waitcnt vmcnt(3)
	v_mul_f64 v[76:77], v[38:39], v[6:7]
	s_waitcnt vmcnt(2)
	v_mul_f64 v[80:81], v[46:47], v[10:11]
	v_mul_f64 v[82:83], v[44:45], v[10:11]
	s_waitcnt vmcnt(1)
	v_mul_f64 v[84:85], v[54:55], v[14:15]
	s_waitcnt vmcnt(0)
	v_mul_f64 v[88:89], v[62:63], v[18:19]
	v_mul_f64 v[90:91], v[60:61], v[18:19]
	;; [unrolled: 1-line block ×9, first 2 shown]
	v_fma_f64 v[36:37], v[36:37], v[4:5], -v[76:77]
	v_fma_f64 v[44:45], v[44:45], v[8:9], -v[80:81]
	v_fma_f64 v[46:47], v[46:47], v[8:9], v[82:83]
	v_fma_f64 v[52:53], v[52:53], v[12:13], -v[84:85]
	v_fma_f64 v[60:61], v[60:61], v[16:17], -v[88:89]
	v_fma_f64 v[62:63], v[62:63], v[16:17], v[90:91]
	v_mul_f64 v[96:97], v[50:51], v[10:11]
	v_mul_f64 v[10:11], v[48:49], v[10:11]
	v_fma_f64 v[28:29], v[28:29], v[0:1], -v[72:73]
	v_fma_f64 v[30:31], v[30:31], v[0:1], v[74:75]
	v_fma_f64 v[38:39], v[38:39], v[4:5], v[78:79]
	;; [unrolled: 1-line block ×3, first 2 shown]
	v_fma_f64 v[32:33], v[32:33], v[0:1], -v[92:93]
	v_fma_f64 v[34:35], v[34:35], v[0:1], v[2:3]
	v_fma_f64 v[40:41], v[40:41], v[4:5], -v[94:95]
	v_fma_f64 v[42:43], v[42:43], v[4:5], v[6:7]
	v_add_f64 v[0:1], v[36:37], v[52:53]
	v_add_f64 v[2:3], v[46:47], v[62:63]
	;; [unrolled: 1-line block ×3, first 2 shown]
	v_mul_f64 v[98:99], v[58:59], v[14:15]
	v_mul_f64 v[14:15], v[56:57], v[14:15]
	v_fma_f64 v[48:49], v[48:49], v[8:9], -v[96:97]
	v_fma_f64 v[50:51], v[50:51], v[8:9], v[10:11]
	v_add_f64 v[6:7], v[20:21], v[36:37]
	v_add_f64 v[8:9], v[38:39], -v[54:55]
	v_add_f64 v[10:11], v[46:47], -v[62:63]
	v_fma_f64 v[0:1], v[0:1], -0.5, v[20:21]
	v_add_f64 v[20:21], v[44:45], -v[60:61]
	v_fma_f64 v[2:3], v[2:3], -0.5, v[30:31]
	v_fma_f64 v[4:5], v[4:5], -0.5, v[28:29]
	v_mul_f64 v[100:101], v[66:67], v[18:19]
	v_fma_f64 v[56:57], v[56:57], v[12:13], -v[98:99]
	v_fma_f64 v[58:59], v[58:59], v[12:13], v[14:15]
	v_add_f64 v[12:13], v[38:39], v[54:55]
	v_add_f64 v[14:15], v[6:7], v[52:53]
	v_fma_f64 v[72:73], v[8:9], s[4:5], v[0:1]
	v_fma_f64 v[74:75], v[8:9], s[6:7], v[0:1]
	;; [unrolled: 1-line block ×4, first 2 shown]
	v_mul_f64 v[18:19], v[64:65], v[18:19]
	v_fma_f64 v[64:65], v[64:65], v[16:17], -v[100:101]
	v_add_f64 v[8:9], v[22:23], v[38:39]
	v_fma_f64 v[4:5], v[10:11], s[4:5], v[4:5]
	v_fma_f64 v[10:11], v[12:13], -0.5, v[22:23]
	v_fma_f64 v[2:3], v[20:21], s[4:5], v[2:3]
	v_add_f64 v[20:21], v[28:29], v[44:45]
	v_mul_f64 v[22:23], v[0:1], s[4:5]
	v_mul_f64 v[28:29], v[6:7], -0.5
	v_add_f64 v[30:31], v[30:31], v[46:47]
	v_fma_f64 v[18:19], v[66:67], v[16:17], v[18:19]
	v_add_f64 v[12:13], v[36:37], -v[52:53]
	v_mul_f64 v[36:37], v[4:5], s[6:7]
	v_add_f64 v[38:39], v[8:9], v[54:55]
	v_mul_f64 v[8:9], v[2:3], -0.5
	v_add_f64 v[20:21], v[20:21], v[60:61]
	v_fma_f64 v[22:23], v[4:5], 0.5, v[22:23]
	v_fma_f64 v[28:29], v[2:3], s[4:5], v[28:29]
	v_add_f64 v[54:55], v[40:41], v[56:57]
	v_add_f64 v[60:61], v[48:49], v[64:65]
	;; [unrolled: 1-line block ×4, first 2 shown]
	v_fma_f64 v[44:45], v[12:13], s[6:7], v[10:11]
	v_fma_f64 v[36:37], v[0:1], 0.5, v[36:37]
	v_fma_f64 v[46:47], v[12:13], s[4:5], v[10:11]
	v_fma_f64 v[52:53], v[6:7], s[6:7], v[8:9]
	v_add_f64 v[0:1], v[14:15], v[20:21]
	v_add_f64 v[4:5], v[72:73], v[22:23]
	;; [unrolled: 1-line block ×3, first 2 shown]
	v_add_f64 v[12:13], v[14:15], -v[20:21]
	v_add_f64 v[16:17], v[72:73], -v[22:23]
	;; [unrolled: 1-line block ×3, first 2 shown]
	v_add_f64 v[22:23], v[24:25], v[40:41]
	v_fma_f64 v[24:25], v[54:55], -0.5, v[24:25]
	v_add_f64 v[28:29], v[42:43], -v[58:59]
	v_fma_f64 v[54:55], v[60:61], -0.5, v[32:33]
	v_add_f64 v[66:67], v[50:51], -v[18:19]
	;; [unrolled: 2-line block ×3, first 2 shown]
	v_add_f64 v[2:3], v[38:39], v[30:31]
	v_add_f64 v[72:73], v[42:43], v[58:59]
	v_add_f64 v[14:15], v[38:39], -v[30:31]
	v_add_f64 v[38:39], v[22:23], v[56:57]
	v_fma_f64 v[74:75], v[28:29], s[4:5], v[24:25]
	v_add_f64 v[22:23], v[26:27], v[42:43]
	v_fma_f64 v[42:43], v[28:29], s[6:7], v[24:25]
	v_fma_f64 v[28:29], v[66:67], s[6:7], v[54:55]
	v_fma_f64 v[24:25], v[62:63], s[6:7], v[60:61]
	v_fma_f64 v[30:31], v[66:67], s[4:5], v[54:55]
	v_fma_f64 v[54:55], v[62:63], s[4:5], v[60:61]
	v_fma_f64 v[26:27], v[72:73], -0.5, v[26:27]
	v_add_f64 v[40:41], v[40:41], -v[56:57]
	v_add_f64 v[56:57], v[22:23], v[58:59]
	v_add_f64 v[22:23], v[32:33], v[48:49]
	v_mul_f64 v[48:49], v[28:29], -0.5
	v_add_f64 v[34:35], v[34:35], v[50:51]
	v_mul_f64 v[32:33], v[24:25], s[4:5]
	v_mul_f64 v[50:51], v[30:31], s[6:7]
	v_mul_f64 v[58:59], v[54:55], -0.5
	v_fma_f64 v[60:61], v[40:41], s[6:7], v[26:27]
	v_fma_f64 v[62:63], v[40:41], s[4:5], v[26:27]
	v_add_f64 v[40:41], v[22:23], v[64:65]
	v_fma_f64 v[48:49], v[54:55], s[4:5], v[48:49]
	v_add_f64 v[54:55], v[34:35], v[18:19]
	v_fma_f64 v[64:65], v[30:31], 0.5, v[32:33]
	v_fma_f64 v[50:51], v[24:25], 0.5, v[50:51]
	v_fma_f64 v[58:59], v[28:29], s[6:7], v[58:59]
	v_add_f64 v[6:7], v[44:45], v[36:37]
	v_add_f64 v[10:11], v[46:47], v[52:53]
	v_add_f64 v[18:19], v[44:45], -v[36:37]
	v_add_f64 v[22:23], v[46:47], -v[52:53]
	v_add_f64 v[24:25], v[38:39], v[40:41]
	v_add_f64 v[26:27], v[56:57], v[54:55]
	;; [unrolled: 1-line block ×6, first 2 shown]
	v_add_f64 v[36:37], v[38:39], -v[40:41]
	v_add_f64 v[40:41], v[74:75], -v[64:65]
	;; [unrolled: 1-line block ×6, first 2 shown]
	ds_write_b128 v112, v[0:3]
	ds_write_b128 v112, v[4:7] offset:816
	ds_write_b128 v112, v[8:11] offset:1632
	;; [unrolled: 1-line block ×11, first 2 shown]
	v_lshlrev_b64 v[8:9], 4, v[68:69]
	v_mov_b32_e32 v0, s9
	v_add_co_u32_e32 v24, vcc, s8, v8
	v_addc_co_u32_e32 v25, vcc, v0, v9, vcc
	s_movk_i32 s4, 0x1000
	v_add_co_u32_e32 v22, vcc, s4, v24
	v_addc_co_u32_e32 v23, vcc, 0, v25, vcc
	s_waitcnt lgkmcnt(0)
	; wave barrier
	s_waitcnt lgkmcnt(0)
	global_load_dwordx4 v[0:3], v[22:23], off offset:528
	global_load_dwordx4 v[4:7], v[22:23], off offset:1344
	;; [unrolled: 1-line block ×5, first 2 shown]
	s_movk_i32 s4, 0x2000
	v_add_co_u32_e32 v22, vcc, s4, v24
	v_addc_co_u32_e32 v23, vcc, 0, v25, vcc
	global_load_dwordx4 v[22:25], v[22:23], off offset:512
	ds_read_b128 v[26:29], v112
	ds_read_b128 v[30:33], v112 offset:816
	ds_read_b128 v[34:37], v112 offset:4896
	;; [unrolled: 1-line block ×11, first 2 shown]
	s_waitcnt lgkmcnt(0)
	; wave barrier
	s_waitcnt lgkmcnt(0)
	s_add_u32 s6, s8, 0x2530
	s_addc_u32 s7, s9, 0
	v_cmp_ne_u32_e32 vcc, 0, v68
	s_waitcnt vmcnt(5)
	v_mul_f64 v[66:67], v[36:37], v[2:3]
	v_mul_f64 v[2:3], v[34:35], v[2:3]
	s_waitcnt vmcnt(4)
	v_mul_f64 v[80:81], v[40:41], v[6:7]
	v_mul_f64 v[6:7], v[38:39], v[6:7]
	;; [unrolled: 3-line block ×4, first 2 shown]
	v_fma_f64 v[34:35], v[34:35], v[0:1], -v[66:67]
	v_fma_f64 v[2:3], v[36:37], v[0:1], v[2:3]
	v_fma_f64 v[36:37], v[38:39], v[4:5], -v[80:81]
	v_fma_f64 v[6:7], v[40:41], v[4:5], v[6:7]
	;; [unrolled: 2-line block ×4, first 2 shown]
	s_waitcnt vmcnt(1)
	v_mul_f64 v[10:11], v[74:75], v[20:21]
	v_mul_f64 v[12:13], v[72:73], v[20:21]
	s_waitcnt vmcnt(0)
	v_mul_f64 v[14:15], v[78:79], v[24:25]
	v_mul_f64 v[16:17], v[76:77], v[24:25]
	v_add_f64 v[0:1], v[26:27], -v[34:35]
	v_add_f64 v[2:3], v[28:29], -v[2:3]
	;; [unrolled: 1-line block ×4, first 2 shown]
	v_fma_f64 v[34:35], v[72:73], v[18:19], -v[10:11]
	v_fma_f64 v[36:37], v[74:75], v[18:19], v[12:13]
	v_fma_f64 v[54:55], v[76:77], v[22:23], -v[14:15]
	v_fma_f64 v[56:57], v[78:79], v[22:23], v[16:17]
	v_add_f64 v[18:19], v[42:43], -v[38:39]
	v_add_f64 v[20:21], v[44:45], -v[40:41]
	v_add_f64 v[22:23], v[46:47], -v[50:51]
	v_add_f64 v[24:25], v[48:49], -v[52:53]
	v_fma_f64 v[10:11], v[26:27], 2.0, -v[0:1]
	v_fma_f64 v[12:13], v[28:29], 2.0, -v[2:3]
	;; [unrolled: 1-line block ×4, first 2 shown]
	v_add_f64 v[26:27], v[58:59], -v[34:35]
	v_add_f64 v[28:29], v[60:61], -v[36:37]
	;; [unrolled: 1-line block ×4, first 2 shown]
	v_fma_f64 v[34:35], v[42:43], 2.0, -v[18:19]
	v_fma_f64 v[36:37], v[44:45], 2.0, -v[20:21]
	;; [unrolled: 1-line block ×8, first 2 shown]
	ds_write_b128 v112, v[10:13]
	ds_write_b128 v112, v[0:3] offset:4896
	ds_write_b128 v112, v[14:17] offset:816
	;; [unrolled: 1-line block ×11, first 2 shown]
	s_waitcnt lgkmcnt(0)
	; wave barrier
	s_waitcnt lgkmcnt(0)
	ds_read_b128 v[4:7], v112
	v_lshlrev_b32_e32 v0, 4, v68
	v_sub_u32_e32 v14, 0, v0
                                        ; implicit-def: $vgpr0_vgpr1
                                        ; implicit-def: $vgpr10_vgpr11
                                        ; implicit-def: $vgpr12_vgpr13
	s_and_saveexec_b64 s[4:5], vcc
	s_xor_b64 s[4:5], exec, s[4:5]
	s_cbranch_execz .LBB0_15
; %bb.14:
	v_mov_b32_e32 v1, s7
	v_add_co_u32_e32 v0, vcc, s6, v8
	v_addc_co_u32_e32 v1, vcc, v1, v9, vcc
	global_load_dwordx4 v[15:18], v[0:1], off
	ds_read_b128 v[0:3], v14 offset:9792
	s_waitcnt lgkmcnt(0)
	v_add_f64 v[10:11], v[4:5], -v[0:1]
	v_add_f64 v[12:13], v[6:7], v[2:3]
	v_add_f64 v[2:3], v[6:7], -v[2:3]
	v_add_f64 v[0:1], v[4:5], v[0:1]
	v_mul_f64 v[6:7], v[10:11], 0.5
	v_mul_f64 v[4:5], v[12:13], 0.5
	;; [unrolled: 1-line block ×3, first 2 shown]
	s_waitcnt vmcnt(0)
	v_mul_f64 v[10:11], v[6:7], v[17:18]
	v_fma_f64 v[12:13], v[4:5], v[17:18], v[2:3]
	v_fma_f64 v[2:3], v[4:5], v[17:18], -v[2:3]
	v_fma_f64 v[19:20], v[0:1], 0.5, v[10:11]
	v_fma_f64 v[0:1], v[0:1], 0.5, -v[10:11]
	v_fma_f64 v[12:13], -v[15:16], v[6:7], v[12:13]
	v_fma_f64 v[2:3], -v[15:16], v[6:7], v[2:3]
	v_fma_f64 v[10:11], v[4:5], v[15:16], v[19:20]
	v_fma_f64 v[0:1], -v[4:5], v[15:16], v[0:1]
                                        ; implicit-def: $vgpr4_vgpr5
.LBB0_15:
	s_andn2_saveexec_b64 s[4:5], s[4:5]
	s_cbranch_execz .LBB0_17
; %bb.16:
	s_waitcnt lgkmcnt(0)
	v_add_f64 v[10:11], v[4:5], v[6:7]
	v_add_f64 v[0:1], v[4:5], -v[6:7]
	v_mov_b32_e32 v4, 0
	ds_read_b64 v[2:3], v4 offset:4904
	v_mov_b32_e32 v12, 0
	v_mov_b32_e32 v13, 0
	s_waitcnt lgkmcnt(0)
	v_xor_b32_e32 v3, 0x80000000, v3
	ds_write_b64 v4, v[2:3] offset:4904
	v_mov_b32_e32 v2, v12
	v_mov_b32_e32 v3, v13
.LBB0_17:
	s_or_b64 exec, exec, s[4:5]
	s_waitcnt lgkmcnt(0)
	v_mov_b32_e32 v4, s7
	v_add_co_u32_e32 v19, vcc, s6, v8
	v_addc_co_u32_e32 v20, vcc, v4, v9, vcc
	global_load_dwordx4 v[4:7], v[19:20], off offset:816
	global_load_dwordx4 v[15:18], v[19:20], off offset:1632
	ds_write2_b64 v112, v[10:11], v[12:13] offset1:1
	ds_write_b128 v14, v[0:3] offset:9792
	ds_read_b128 v[0:3], v112 offset:816
	ds_read_b128 v[10:13], v14 offset:8976
	s_waitcnt lgkmcnt(0)
	v_add_f64 v[21:22], v[0:1], -v[10:11]
	v_add_f64 v[23:24], v[2:3], v[12:13]
	v_add_f64 v[2:3], v[2:3], -v[12:13]
	v_add_f64 v[0:1], v[0:1], v[10:11]
	v_mul_f64 v[12:13], v[21:22], 0.5
	v_mul_f64 v[21:22], v[23:24], 0.5
	;; [unrolled: 1-line block ×3, first 2 shown]
	s_waitcnt vmcnt(1)
	v_mul_f64 v[10:11], v[12:13], v[6:7]
	v_fma_f64 v[23:24], v[21:22], v[6:7], v[2:3]
	v_fma_f64 v[2:3], v[21:22], v[6:7], -v[2:3]
	v_fma_f64 v[6:7], v[0:1], 0.5, v[10:11]
	v_fma_f64 v[0:1], v[0:1], 0.5, -v[10:11]
	v_fma_f64 v[23:24], -v[4:5], v[12:13], v[23:24]
	v_fma_f64 v[2:3], -v[4:5], v[12:13], v[2:3]
	global_load_dwordx4 v[10:13], v[19:20], off offset:2448
	v_fma_f64 v[6:7], v[21:22], v[4:5], v[6:7]
	v_fma_f64 v[0:1], -v[21:22], v[4:5], v[0:1]
	ds_write2_b64 v112, v[6:7], v[23:24] offset0:102 offset1:103
	ds_write_b128 v14, v[0:3] offset:8976
	ds_read_b128 v[0:3], v112 offset:1632
	ds_read_b128 v[4:7], v14 offset:8160
	s_waitcnt lgkmcnt(0)
	v_add_f64 v[21:22], v[0:1], -v[4:5]
	v_add_f64 v[23:24], v[2:3], v[6:7]
	v_add_f64 v[2:3], v[2:3], -v[6:7]
	v_add_f64 v[0:1], v[0:1], v[4:5]
	v_mul_f64 v[6:7], v[21:22], 0.5
	v_mul_f64 v[21:22], v[23:24], 0.5
	;; [unrolled: 1-line block ×3, first 2 shown]
	s_waitcnt vmcnt(1)
	v_mul_f64 v[4:5], v[6:7], v[17:18]
	v_fma_f64 v[23:24], v[21:22], v[17:18], v[2:3]
	v_fma_f64 v[17:18], v[21:22], v[17:18], -v[2:3]
	v_fma_f64 v[25:26], v[0:1], 0.5, v[4:5]
	v_fma_f64 v[4:5], v[0:1], 0.5, -v[4:5]
	global_load_dwordx4 v[0:3], v[19:20], off offset:3264
	v_fma_f64 v[23:24], -v[15:16], v[6:7], v[23:24]
	v_fma_f64 v[6:7], -v[15:16], v[6:7], v[17:18]
	v_fma_f64 v[17:18], v[21:22], v[15:16], v[25:26]
	v_fma_f64 v[4:5], -v[21:22], v[15:16], v[4:5]
	ds_write2_b64 v112, v[17:18], v[23:24] offset0:204 offset1:205
	ds_write_b128 v14, v[4:7] offset:8160
	ds_read_b128 v[4:7], v112 offset:2448
	ds_read_b128 v[15:18], v14 offset:7344
	s_waitcnt lgkmcnt(0)
	v_add_f64 v[21:22], v[4:5], -v[15:16]
	v_add_f64 v[23:24], v[6:7], v[17:18]
	v_add_f64 v[6:7], v[6:7], -v[17:18]
	v_add_f64 v[4:5], v[4:5], v[15:16]
	v_mul_f64 v[17:18], v[21:22], 0.5
	v_mul_f64 v[21:22], v[23:24], 0.5
	;; [unrolled: 1-line block ×3, first 2 shown]
	s_waitcnt vmcnt(1)
	v_mul_f64 v[15:16], v[17:18], v[12:13]
	v_fma_f64 v[23:24], v[21:22], v[12:13], v[6:7]
	v_fma_f64 v[12:13], v[21:22], v[12:13], -v[6:7]
	v_fma_f64 v[25:26], v[4:5], 0.5, v[15:16]
	v_fma_f64 v[15:16], v[4:5], 0.5, -v[15:16]
	global_load_dwordx4 v[4:7], v[19:20], off offset:4080
	v_fma_f64 v[19:20], -v[10:11], v[17:18], v[23:24]
	v_fma_f64 v[12:13], -v[10:11], v[17:18], v[12:13]
	v_add_u32_e32 v23, 0x800, v112
	v_fma_f64 v[17:18], v[21:22], v[10:11], v[25:26]
	v_fma_f64 v[10:11], -v[21:22], v[10:11], v[15:16]
	ds_write2_b64 v23, v[17:18], v[19:20] offset0:50 offset1:51
	ds_write_b128 v14, v[10:13] offset:7344
	ds_read_b128 v[10:13], v112 offset:3264
	ds_read_b128 v[15:18], v14 offset:6528
	s_waitcnt lgkmcnt(0)
	v_add_f64 v[19:20], v[10:11], -v[15:16]
	v_add_f64 v[21:22], v[12:13], v[17:18]
	v_add_f64 v[12:13], v[12:13], -v[17:18]
	v_add_f64 v[10:11], v[10:11], v[15:16]
	v_mul_f64 v[17:18], v[19:20], 0.5
	v_mul_f64 v[19:20], v[21:22], 0.5
	;; [unrolled: 1-line block ×3, first 2 shown]
	s_waitcnt vmcnt(1)
	v_mul_f64 v[15:16], v[17:18], v[2:3]
	v_fma_f64 v[21:22], v[19:20], v[2:3], v[12:13]
	v_fma_f64 v[2:3], v[19:20], v[2:3], -v[12:13]
	v_fma_f64 v[12:13], v[10:11], 0.5, v[15:16]
	v_fma_f64 v[10:11], v[10:11], 0.5, -v[15:16]
	v_fma_f64 v[15:16], -v[0:1], v[17:18], v[21:22]
	v_fma_f64 v[2:3], -v[0:1], v[17:18], v[2:3]
	v_fma_f64 v[12:13], v[19:20], v[0:1], v[12:13]
	v_fma_f64 v[0:1], -v[19:20], v[0:1], v[10:11]
	ds_write2_b64 v23, v[12:13], v[15:16] offset0:152 offset1:153
	ds_write_b128 v14, v[0:3] offset:6528
	ds_read_b128 v[0:3], v112 offset:4080
	ds_read_b128 v[10:13], v14 offset:5712
	s_waitcnt lgkmcnt(0)
	v_add_f64 v[15:16], v[0:1], -v[10:11]
	v_add_f64 v[17:18], v[2:3], v[12:13]
	v_add_f64 v[2:3], v[2:3], -v[12:13]
	v_add_f64 v[0:1], v[0:1], v[10:11]
	v_mul_f64 v[12:13], v[15:16], 0.5
	v_mul_f64 v[15:16], v[17:18], 0.5
	;; [unrolled: 1-line block ×3, first 2 shown]
	s_waitcnt vmcnt(0)
	v_mul_f64 v[10:11], v[12:13], v[6:7]
	v_fma_f64 v[17:18], v[15:16], v[6:7], v[2:3]
	v_fma_f64 v[2:3], v[15:16], v[6:7], -v[2:3]
	v_fma_f64 v[6:7], v[0:1], 0.5, v[10:11]
	v_fma_f64 v[0:1], v[0:1], 0.5, -v[10:11]
	v_fma_f64 v[10:11], -v[4:5], v[12:13], v[17:18]
	v_fma_f64 v[2:3], -v[4:5], v[12:13], v[2:3]
	v_fma_f64 v[6:7], v[15:16], v[4:5], v[6:7]
	v_fma_f64 v[0:1], -v[15:16], v[4:5], v[0:1]
	ds_write2_b64 v23, v[6:7], v[10:11] offset0:254 offset1:255
	ds_write_b128 v14, v[0:3] offset:5712
	s_waitcnt lgkmcnt(0)
	; wave barrier
	s_waitcnt lgkmcnt(0)
	s_and_saveexec_b64 s[4:5], s[0:1]
	s_cbranch_execz .LBB0_20
; %bb.18:
	ds_read_b128 v[2:5], v112
	v_mov_b32_e32 v0, s3
	v_add_co_u32_e32 v1, vcc, s2, v70
	v_addc_co_u32_e32 v0, vcc, v0, v71, vcc
	v_add_co_u32_e32 v22, vcc, v1, v8
	v_addc_co_u32_e32 v23, vcc, v0, v9, vcc
	ds_read_b128 v[6:9], v112 offset:816
	s_waitcnt lgkmcnt(1)
	global_store_dwordx4 v[22:23], v[2:5], off
	ds_read_b128 v[2:5], v112 offset:1632
	ds_read_b128 v[10:13], v112 offset:2448
	;; [unrolled: 1-line block ×4, first 2 shown]
	s_waitcnt lgkmcnt(4)
	global_store_dwordx4 v[22:23], v[6:9], off offset:816
	s_waitcnt lgkmcnt(3)
	global_store_dwordx4 v[22:23], v[2:5], off offset:1632
	;; [unrolled: 2-line block ×5, first 2 shown]
	ds_read_b128 v[2:5], v112 offset:4896
	s_movk_i32 s0, 0x1000
	ds_read_b128 v[6:9], v112 offset:5712
	ds_read_b128 v[10:13], v112 offset:6528
	;; [unrolled: 1-line block ×3, first 2 shown]
	v_add_co_u32_e32 v18, vcc, s0, v22
	v_addc_co_u32_e32 v19, vcc, 0, v23, vcc
	s_waitcnt lgkmcnt(3)
	global_store_dwordx4 v[18:19], v[2:5], off offset:800
	ds_read_b128 v[2:5], v112 offset:8160
	s_waitcnt lgkmcnt(3)
	global_store_dwordx4 v[18:19], v[6:9], off offset:1616
	s_waitcnt lgkmcnt(2)
	global_store_dwordx4 v[18:19], v[10:13], off offset:2432
	;; [unrolled: 2-line block ×3, first 2 shown]
	ds_read_b128 v[6:9], v112 offset:8976
	s_waitcnt lgkmcnt(1)
	global_store_dwordx4 v[18:19], v[2:5], off offset:4064
	s_nop 0
	v_add_co_u32_e32 v2, vcc, 0x2000, v22
	v_addc_co_u32_e32 v3, vcc, 0, v23, vcc
	v_cmp_eq_u32_e32 vcc, 50, v68
	s_waitcnt lgkmcnt(0)
	global_store_dwordx4 v[2:3], v[6:9], off offset:784
	s_and_b64 exec, exec, vcc
	s_cbranch_execz .LBB0_20
; %bb.19:
	v_mov_b32_e32 v2, 0
	ds_read_b128 v[2:5], v2 offset:9792
	v_add_co_u32_e32 v6, vcc, 0x2000, v1
	v_addc_co_u32_e32 v7, vcc, 0, v0, vcc
	s_waitcnt lgkmcnt(0)
	global_store_dwordx4 v[6:7], v[2:5], off offset:1600
.LBB0_20:
	s_endpgm
	.section	.rodata,"a",@progbits
	.p2align	6, 0x0
	.amdhsa_kernel fft_rtc_fwd_len612_factors_17_3_6_2_wgs_51_tpt_51_halfLds_dp_ip_CI_unitstride_sbrr_R2C_dirReg
		.amdhsa_group_segment_fixed_size 0
		.amdhsa_private_segment_fixed_size 0
		.amdhsa_kernarg_size 88
		.amdhsa_user_sgpr_count 6
		.amdhsa_user_sgpr_private_segment_buffer 1
		.amdhsa_user_sgpr_dispatch_ptr 0
		.amdhsa_user_sgpr_queue_ptr 0
		.amdhsa_user_sgpr_kernarg_segment_ptr 1
		.amdhsa_user_sgpr_dispatch_id 0
		.amdhsa_user_sgpr_flat_scratch_init 0
		.amdhsa_user_sgpr_private_segment_size 0
		.amdhsa_uses_dynamic_stack 0
		.amdhsa_system_sgpr_private_segment_wavefront_offset 0
		.amdhsa_system_sgpr_workgroup_id_x 1
		.amdhsa_system_sgpr_workgroup_id_y 0
		.amdhsa_system_sgpr_workgroup_id_z 0
		.amdhsa_system_sgpr_workgroup_info 0
		.amdhsa_system_vgpr_workitem_id 0
		.amdhsa_next_free_vgpr 161
		.amdhsa_next_free_sgpr 58
		.amdhsa_reserve_vcc 1
		.amdhsa_reserve_flat_scratch 0
		.amdhsa_float_round_mode_32 0
		.amdhsa_float_round_mode_16_64 0
		.amdhsa_float_denorm_mode_32 3
		.amdhsa_float_denorm_mode_16_64 3
		.amdhsa_dx10_clamp 1
		.amdhsa_ieee_mode 1
		.amdhsa_fp16_overflow 0
		.amdhsa_exception_fp_ieee_invalid_op 0
		.amdhsa_exception_fp_denorm_src 0
		.amdhsa_exception_fp_ieee_div_zero 0
		.amdhsa_exception_fp_ieee_overflow 0
		.amdhsa_exception_fp_ieee_underflow 0
		.amdhsa_exception_fp_ieee_inexact 0
		.amdhsa_exception_int_div_zero 0
	.end_amdhsa_kernel
	.text
.Lfunc_end0:
	.size	fft_rtc_fwd_len612_factors_17_3_6_2_wgs_51_tpt_51_halfLds_dp_ip_CI_unitstride_sbrr_R2C_dirReg, .Lfunc_end0-fft_rtc_fwd_len612_factors_17_3_6_2_wgs_51_tpt_51_halfLds_dp_ip_CI_unitstride_sbrr_R2C_dirReg
                                        ; -- End function
	.section	.AMDGPU.csdata,"",@progbits
; Kernel info:
; codeLenInByte = 12644
; NumSgprs: 62
; NumVgprs: 161
; ScratchSize: 0
; MemoryBound: 0
; FloatMode: 240
; IeeeMode: 1
; LDSByteSize: 0 bytes/workgroup (compile time only)
; SGPRBlocks: 7
; VGPRBlocks: 40
; NumSGPRsForWavesPerEU: 62
; NumVGPRsForWavesPerEU: 161
; Occupancy: 1
; WaveLimiterHint : 1
; COMPUTE_PGM_RSRC2:SCRATCH_EN: 0
; COMPUTE_PGM_RSRC2:USER_SGPR: 6
; COMPUTE_PGM_RSRC2:TRAP_HANDLER: 0
; COMPUTE_PGM_RSRC2:TGID_X_EN: 1
; COMPUTE_PGM_RSRC2:TGID_Y_EN: 0
; COMPUTE_PGM_RSRC2:TGID_Z_EN: 0
; COMPUTE_PGM_RSRC2:TIDIG_COMP_CNT: 0
	.type	__hip_cuid_8d30e125f0db52f2,@object ; @__hip_cuid_8d30e125f0db52f2
	.section	.bss,"aw",@nobits
	.globl	__hip_cuid_8d30e125f0db52f2
__hip_cuid_8d30e125f0db52f2:
	.byte	0                               ; 0x0
	.size	__hip_cuid_8d30e125f0db52f2, 1

	.ident	"AMD clang version 19.0.0git (https://github.com/RadeonOpenCompute/llvm-project roc-6.4.0 25133 c7fe45cf4b819c5991fe208aaa96edf142730f1d)"
	.section	".note.GNU-stack","",@progbits
	.addrsig
	.addrsig_sym __hip_cuid_8d30e125f0db52f2
	.amdgpu_metadata
---
amdhsa.kernels:
  - .args:
      - .actual_access:  read_only
        .address_space:  global
        .offset:         0
        .size:           8
        .value_kind:     global_buffer
      - .offset:         8
        .size:           8
        .value_kind:     by_value
      - .actual_access:  read_only
        .address_space:  global
        .offset:         16
        .size:           8
        .value_kind:     global_buffer
      - .actual_access:  read_only
        .address_space:  global
        .offset:         24
        .size:           8
        .value_kind:     global_buffer
      - .offset:         32
        .size:           8
        .value_kind:     by_value
      - .actual_access:  read_only
        .address_space:  global
        .offset:         40
        .size:           8
        .value_kind:     global_buffer
      - .actual_access:  read_only
        .address_space:  global
        .offset:         48
        .size:           8
        .value_kind:     global_buffer
      - .offset:         56
        .size:           4
        .value_kind:     by_value
      - .actual_access:  read_only
        .address_space:  global
        .offset:         64
        .size:           8
        .value_kind:     global_buffer
      - .actual_access:  read_only
        .address_space:  global
        .offset:         72
        .size:           8
        .value_kind:     global_buffer
      - .address_space:  global
        .offset:         80
        .size:           8
        .value_kind:     global_buffer
    .group_segment_fixed_size: 0
    .kernarg_segment_align: 8
    .kernarg_segment_size: 88
    .language:       OpenCL C
    .language_version:
      - 2
      - 0
    .max_flat_workgroup_size: 51
    .name:           fft_rtc_fwd_len612_factors_17_3_6_2_wgs_51_tpt_51_halfLds_dp_ip_CI_unitstride_sbrr_R2C_dirReg
    .private_segment_fixed_size: 0
    .sgpr_count:     62
    .sgpr_spill_count: 0
    .symbol:         fft_rtc_fwd_len612_factors_17_3_6_2_wgs_51_tpt_51_halfLds_dp_ip_CI_unitstride_sbrr_R2C_dirReg.kd
    .uniform_work_group_size: 1
    .uses_dynamic_stack: false
    .vgpr_count:     161
    .vgpr_spill_count: 0
    .wavefront_size: 64
amdhsa.target:   amdgcn-amd-amdhsa--gfx906
amdhsa.version:
  - 1
  - 2
...

	.end_amdgpu_metadata
